;; amdgpu-corpus repo=ROCm/rocFFT kind=compiled arch=gfx906 opt=O3
	.text
	.amdgcn_target "amdgcn-amd-amdhsa--gfx906"
	.amdhsa_code_object_version 6
	.protected	bluestein_single_fwd_len1309_dim1_half_op_CI_CI ; -- Begin function bluestein_single_fwd_len1309_dim1_half_op_CI_CI
	.globl	bluestein_single_fwd_len1309_dim1_half_op_CI_CI
	.p2align	8
	.type	bluestein_single_fwd_len1309_dim1_half_op_CI_CI,@function
bluestein_single_fwd_len1309_dim1_half_op_CI_CI: ; @bluestein_single_fwd_len1309_dim1_half_op_CI_CI
; %bb.0:
	s_load_dwordx4 s[0:3], s[4:5], 0x28
	v_mul_u32_u24_e32 v1, 0x227, v0
	v_add_u32_sdwa v16, s6, v1 dst_sel:DWORD dst_unused:UNUSED_PAD src0_sel:DWORD src1_sel:WORD_1
	v_mov_b32_e32 v17, 0
	s_waitcnt lgkmcnt(0)
	v_cmp_gt_u64_e32 vcc, s[0:1], v[16:17]
	s_and_saveexec_b64 s[0:1], vcc
	s_cbranch_execz .LBB0_23
; %bb.1:
	s_load_dwordx2 s[6:7], s[4:5], 0x0
	s_load_dwordx2 s[12:13], s[4:5], 0x38
	s_movk_i32 s0, 0x77
	v_mul_lo_u16_sdwa v1, v1, s0 dst_sel:DWORD dst_unused:UNUSED_PAD src0_sel:WORD_1 src1_sel:DWORD
	v_sub_u16_e32 v46, v0, v1
	s_movk_i32 s0, 0x4d
	v_cmp_gt_u16_e64 s[0:1], s0, v46
	v_lshlrev_b32_e32 v45, 2, v46
	s_and_saveexec_b64 s[8:9], s[0:1]
	s_cbranch_execz .LBB0_3
; %bb.2:
	s_load_dwordx2 s[10:11], s[4:5], 0x18
	s_waitcnt lgkmcnt(0)
	v_mov_b32_e32 v12, s7
	s_load_dwordx4 s[16:19], s[10:11], 0x0
	s_waitcnt lgkmcnt(0)
	v_mad_u64_u32 v[0:1], s[10:11], s18, v16, 0
	v_mad_u64_u32 v[2:3], s[10:11], s16, v46, 0
	;; [unrolled: 1-line block ×4, first 2 shown]
	v_mov_b32_e32 v1, v4
	v_lshlrev_b64 v[0:1], 2, v[0:1]
	v_mov_b32_e32 v3, v5
	v_mov_b32_e32 v6, s3
	v_lshlrev_b64 v[2:3], 2, v[2:3]
	v_add_co_u32_e32 v0, vcc, s2, v0
	v_addc_co_u32_e32 v1, vcc, v6, v1, vcc
	v_add_co_u32_e32 v0, vcc, v0, v2
	s_mul_i32 s2, s17, 0x134
	s_mul_hi_u32 s3, s16, 0x134
	v_addc_co_u32_e32 v1, vcc, v1, v3, vcc
	s_add_i32 s2, s3, s2
	s_mul_i32 s3, s16, 0x134
	v_mov_b32_e32 v3, s2
	v_add_co_u32_e32 v2, vcc, s3, v0
	v_addc_co_u32_e32 v3, vcc, v1, v3, vcc
	global_load_dword v4, v[0:1], off
	global_load_dword v5, v[2:3], off
	global_load_dword v6, v45, s[6:7]
	global_load_dword v7, v45, s[6:7] offset:308
	v_mov_b32_e32 v1, s2
	v_add_co_u32_e32 v0, vcc, s3, v2
	v_addc_co_u32_e32 v1, vcc, v3, v1, vcc
	global_load_dword v2, v[0:1], off
	global_load_dword v3, v45, s[6:7] offset:616
	v_mov_b32_e32 v8, s2
	v_add_co_u32_e32 v0, vcc, s3, v0
	v_addc_co_u32_e32 v1, vcc, v1, v8, vcc
	global_load_dword v8, v[0:1], off
	;; [unrolled: 5-line block ×3, first 2 shown]
	global_load_dword v11, v45, s[6:7] offset:1232
	v_add_co_u32_e32 v17, vcc, s6, v45
	v_addc_co_u32_e32 v12, vcc, 0, v12, vcc
	v_mov_b32_e32 v18, s2
	v_add_co_u32_e32 v0, vcc, s3, v0
	v_addc_co_u32_e32 v1, vcc, v1, v18, vcc
	global_load_dword v13, v45, s[6:7] offset:1540
	global_load_dword v14, v45, s[6:7] offset:1848
	;; [unrolled: 1-line block ×3, first 2 shown]
	global_load_dword v18, v[0:1], off
	v_mov_b32_e32 v19, s2
	v_add_co_u32_e32 v0, vcc, s3, v0
	v_addc_co_u32_e32 v1, vcc, v1, v19, vcc
	global_load_dword v19, v[0:1], off
	v_mov_b32_e32 v20, s2
	v_add_co_u32_e32 v0, vcc, s3, v0
	v_addc_co_u32_e32 v1, vcc, v1, v20, vcc
	s_movk_i32 s10, 0x1000
	s_waitcnt vmcnt(14)
	v_lshrrev_b32_e32 v21, 16, v4
	s_waitcnt vmcnt(12)
	v_mul_f16_sdwa v22, v6, v4 dst_sel:DWORD dst_unused:UNUSED_PAD src0_sel:WORD_1 src1_sel:DWORD
	v_mul_f16_sdwa v23, v6, v21 dst_sel:DWORD dst_unused:UNUSED_PAD src0_sel:WORD_1 src1_sel:DWORD
	v_fma_f16 v21, v6, v21, -v22
	v_lshrrev_b32_e32 v22, 16, v5
	s_waitcnt vmcnt(11)
	v_mul_f16_sdwa v24, v7, v5 dst_sel:DWORD dst_unused:UNUSED_PAD src0_sel:WORD_1 src1_sel:DWORD
	v_fma_f16 v4, v6, v4, v23
	v_mul_f16_sdwa v6, v7, v22 dst_sel:DWORD dst_unused:UNUSED_PAD src0_sel:WORD_1 src1_sel:DWORD
	s_waitcnt vmcnt(10)
	v_lshrrev_b32_e32 v23, 16, v2
	v_fma_f16 v22, v7, v22, -v24
	s_waitcnt vmcnt(9)
	v_mul_f16_sdwa v24, v3, v2 dst_sel:DWORD dst_unused:UNUSED_PAD src0_sel:WORD_1 src1_sel:DWORD
	v_pack_b32_f16 v4, v4, v21
	v_fma_f16 v5, v7, v5, v6
	v_mul_f16_sdwa v6, v3, v23 dst_sel:DWORD dst_unused:UNUSED_PAD src0_sel:WORD_1 src1_sel:DWORD
	s_waitcnt vmcnt(8)
	v_lshrrev_b32_e32 v21, 16, v8
	v_fma_f16 v7, v3, v23, -v24
	s_waitcnt vmcnt(7)
	v_mul_f16_sdwa v23, v9, v8 dst_sel:DWORD dst_unused:UNUSED_PAD src0_sel:WORD_1 src1_sel:DWORD
	v_pack_b32_f16 v5, v5, v22
	v_fma_f16 v2, v3, v2, v6
	v_mul_f16_sdwa v3, v9, v21 dst_sel:DWORD dst_unused:UNUSED_PAD src0_sel:WORD_1 src1_sel:DWORD
	v_fma_f16 v6, v9, v21, -v23
	ds_write2_b32 v45, v4, v5 offset1:77
	v_fma_f16 v3, v9, v8, v3
	global_load_dword v5, v[0:1], off
	v_pack_b32_f16 v2, v2, v7
	v_pack_b32_f16 v3, v3, v6
	ds_write2_b32 v45, v2, v3 offset0:154 offset1:231
	v_mov_b32_e32 v2, s2
	v_add_co_u32_e32 v0, vcc, s3, v0
	v_addc_co_u32_e32 v1, vcc, v1, v2, vcc
	global_load_dword v6, v[0:1], off
	v_add_co_u32_e32 v0, vcc, s3, v0
	v_addc_co_u32_e32 v1, vcc, v1, v2, vcc
	global_load_dword v7, v[0:1], off
	global_load_dword v8, v45, s[6:7] offset:2464
	global_load_dword v9, v45, s[6:7] offset:2772
	s_waitcnt vmcnt(11)
	v_lshrrev_b32_e32 v21, 16, v10
	v_add_co_u32_e32 v0, vcc, s3, v0
	s_waitcnt vmcnt(10)
	v_mul_f16_sdwa v4, v11, v21 dst_sel:DWORD dst_unused:UNUSED_PAD src0_sel:WORD_1 src1_sel:DWORD
	v_addc_co_u32_e32 v1, vcc, v1, v2, vcc
	v_mul_f16_sdwa v22, v11, v10 dst_sel:DWORD dst_unused:UNUSED_PAD src0_sel:WORD_1 src1_sel:DWORD
	v_fma_f16 v4, v11, v10, v4
	global_load_dword v10, v[0:1], off
	v_add_co_u32_e32 v0, vcc, s3, v0
	v_addc_co_u32_e32 v1, vcc, v1, v2, vcc
	global_load_dword v20, v[0:1], off
	global_load_dword v23, v45, s[6:7] offset:3080
	global_load_dword v24, v45, s[6:7] offset:3388
	v_add_co_u32_e32 v0, vcc, s3, v0
	v_addc_co_u32_e32 v1, vcc, v1, v2, vcc
	global_load_dword v25, v[0:1], off
	v_add_co_u32_e32 v0, vcc, s3, v0
	v_addc_co_u32_e32 v1, vcc, v1, v2, vcc
	global_load_dword v26, v[0:1], off
	global_load_dword v27, v45, s[6:7] offset:3696
	global_load_dword v28, v45, s[6:7] offset:4004
	v_add_co_u32_e32 v0, vcc, s3, v0
	v_addc_co_u32_e32 v1, vcc, v1, v2, vcc
	v_add_co_u32_e32 v2, vcc, s10, v17
	global_load_dword v29, v[0:1], off
	v_addc_co_u32_e32 v3, vcc, 0, v12, vcc
	global_load_dword v12, v[2:3], off offset:216
	v_mov_b32_e32 v17, s2
	v_add_co_u32_e32 v0, vcc, s3, v0
	v_addc_co_u32_e32 v1, vcc, v1, v17, vcc
	global_load_dword v17, v[0:1], off
	global_load_dword v30, v[2:3], off offset:524
	v_fma_f16 v11, v11, v21, -v22
	v_mov_b32_e32 v21, s2
	v_add_co_u32_e32 v0, vcc, s3, v0
	v_addc_co_u32_e32 v1, vcc, v1, v21, vcc
	global_load_dword v21, v[0:1], off
	global_load_dword v22, v[2:3], off offset:832
	s_waitcnt vmcnt(20)
	v_lshrrev_b32_e32 v1, 16, v18
	v_mul_f16_sdwa v2, v13, v1 dst_sel:DWORD dst_unused:UNUSED_PAD src0_sel:WORD_1 src1_sel:DWORD
	v_mul_f16_sdwa v3, v13, v18 dst_sel:DWORD dst_unused:UNUSED_PAD src0_sel:WORD_1 src1_sel:DWORD
	v_fma_f16 v2, v13, v18, v2
	v_fma_f16 v1, v13, v1, -v3
	v_pack_b32_f16 v0, v4, v11
	v_pack_b32_f16 v1, v2, v1
	v_add_u32_e32 v2, 0x400, v45
	ds_write2_b32 v2, v0, v1 offset0:52 offset1:129
	s_waitcnt vmcnt(19)
	v_lshrrev_b32_e32 v0, 16, v19
	v_mul_f16_sdwa v1, v14, v0 dst_sel:DWORD dst_unused:UNUSED_PAD src0_sel:WORD_1 src1_sel:DWORD
	v_mul_f16_sdwa v2, v14, v19 dst_sel:DWORD dst_unused:UNUSED_PAD src0_sel:WORD_1 src1_sel:DWORD
	v_fma_f16 v1, v14, v19, v1
	v_fma_f16 v0, v14, v0, -v2
	v_pack_b32_f16 v0, v1, v0
	s_waitcnt vmcnt(18)
	v_lshrrev_b32_e32 v1, 16, v5
	v_mul_f16_sdwa v2, v15, v1 dst_sel:DWORD dst_unused:UNUSED_PAD src0_sel:WORD_1 src1_sel:DWORD
	v_mul_f16_sdwa v3, v15, v5 dst_sel:DWORD dst_unused:UNUSED_PAD src0_sel:WORD_1 src1_sel:DWORD
	v_fma_f16 v2, v15, v5, v2
	v_fma_f16 v1, v15, v1, -v3
	v_pack_b32_f16 v1, v2, v1
	v_add_u32_e32 v2, 0x600, v45
	ds_write2_b32 v2, v0, v1 offset0:78 offset1:155
	s_waitcnt vmcnt(17)
	v_lshrrev_b32_e32 v0, 16, v6
	s_waitcnt vmcnt(15)
	v_mul_f16_sdwa v1, v8, v0 dst_sel:DWORD dst_unused:UNUSED_PAD src0_sel:WORD_1 src1_sel:DWORD
	v_mul_f16_sdwa v2, v8, v6 dst_sel:DWORD dst_unused:UNUSED_PAD src0_sel:WORD_1 src1_sel:DWORD
	v_fma_f16 v1, v8, v6, v1
	v_fma_f16 v0, v8, v0, -v2
	v_pack_b32_f16 v0, v1, v0
	v_lshrrev_b32_e32 v1, 16, v7
	s_waitcnt vmcnt(14)
	v_mul_f16_sdwa v2, v9, v1 dst_sel:DWORD dst_unused:UNUSED_PAD src0_sel:WORD_1 src1_sel:DWORD
	v_mul_f16_sdwa v3, v9, v7 dst_sel:DWORD dst_unused:UNUSED_PAD src0_sel:WORD_1 src1_sel:DWORD
	v_fma_f16 v2, v9, v7, v2
	v_fma_f16 v1, v9, v1, -v3
	v_pack_b32_f16 v1, v2, v1
	v_add_u32_e32 v2, 0x800, v45
	ds_write2_b32 v2, v0, v1 offset0:104 offset1:181
	s_waitcnt vmcnt(13)
	v_lshrrev_b32_e32 v0, 16, v10
	s_waitcnt vmcnt(11)
	v_mul_f16_sdwa v1, v23, v0 dst_sel:DWORD dst_unused:UNUSED_PAD src0_sel:WORD_1 src1_sel:DWORD
	v_mul_f16_sdwa v2, v23, v10 dst_sel:DWORD dst_unused:UNUSED_PAD src0_sel:WORD_1 src1_sel:DWORD
	v_fma_f16 v1, v23, v10, v1
	v_fma_f16 v0, v23, v0, -v2
	v_pack_b32_f16 v0, v1, v0
	v_lshrrev_b32_e32 v1, 16, v20
	s_waitcnt vmcnt(10)
	;; [unrolled: 17-line block ×3, first 2 shown]
	v_mul_f16_sdwa v3, v28, v1 dst_sel:DWORD dst_unused:UNUSED_PAD src0_sel:WORD_1 src1_sel:DWORD
	v_mul_f16_sdwa v4, v28, v26 dst_sel:DWORD dst_unused:UNUSED_PAD src0_sel:WORD_1 src1_sel:DWORD
	v_fma_f16 v3, v28, v26, v3
	v_fma_f16 v1, v28, v1, -v4
	v_pack_b32_f16 v1, v3, v1
	ds_write2_b32 v2, v0, v1 offset0:156 offset1:233
	s_waitcnt vmcnt(5)
	v_lshrrev_b32_e32 v0, 16, v29
	s_waitcnt vmcnt(4)
	v_mul_f16_sdwa v1, v12, v0 dst_sel:DWORD dst_unused:UNUSED_PAD src0_sel:WORD_1 src1_sel:DWORD
	v_mul_f16_sdwa v2, v12, v29 dst_sel:DWORD dst_unused:UNUSED_PAD src0_sel:WORD_1 src1_sel:DWORD
	v_fma_f16 v1, v12, v29, v1
	v_fma_f16 v0, v12, v0, -v2
	v_pack_b32_f16 v0, v1, v0
	s_waitcnt vmcnt(3)
	v_lshrrev_b32_e32 v1, 16, v17
	s_waitcnt vmcnt(2)
	v_mul_f16_sdwa v2, v30, v1 dst_sel:DWORD dst_unused:UNUSED_PAD src0_sel:WORD_1 src1_sel:DWORD
	v_mul_f16_sdwa v3, v30, v17 dst_sel:DWORD dst_unused:UNUSED_PAD src0_sel:WORD_1 src1_sel:DWORD
	v_fma_f16 v2, v30, v17, v2
	v_fma_f16 v1, v30, v1, -v3
	v_pack_b32_f16 v1, v2, v1
	v_add_u32_e32 v2, 0x1000, v45
	ds_write2_b32 v2, v0, v1 offset0:54 offset1:131
	s_waitcnt vmcnt(1)
	v_lshrrev_b32_e32 v0, 16, v21
	s_waitcnt vmcnt(0)
	v_mul_f16_sdwa v1, v22, v0 dst_sel:DWORD dst_unused:UNUSED_PAD src0_sel:WORD_1 src1_sel:DWORD
	v_mul_f16_sdwa v2, v22, v21 dst_sel:DWORD dst_unused:UNUSED_PAD src0_sel:WORD_1 src1_sel:DWORD
	v_fma_f16 v1, v22, v21, v1
	v_fma_f16 v0, v22, v0, -v2
	v_pack_b32_f16 v0, v1, v0
	ds_write_b32 v45, v0 offset:4928
.LBB0_3:
	s_or_b64 exec, exec, s[8:9]
	s_waitcnt lgkmcnt(0)
	s_barrier
	s_waitcnt lgkmcnt(0)
                                        ; implicit-def: $vgpr0
                                        ; implicit-def: $vgpr4
                                        ; implicit-def: $vgpr19
                                        ; implicit-def: $vgpr12
                                        ; implicit-def: $vgpr36
                                        ; implicit-def: $vgpr37
                                        ; implicit-def: $vgpr14
                                        ; implicit-def: $vgpr39
                                        ; implicit-def: $vgpr40
                                        ; implicit-def: $vgpr31
                                        ; implicit-def: $vgpr41
                                        ; implicit-def: $vgpr38
                                        ; implicit-def: $vgpr11
                                        ; implicit-def: $vgpr32
                                        ; implicit-def: $vgpr33
                                        ; implicit-def: $vgpr9
                                        ; implicit-def: $vgpr34
                                        ; implicit-def: $vgpr35
                                        ; implicit-def: $vgpr7
                                        ; implicit-def: $vgpr20
                                        ; implicit-def: $vgpr21
                                        ; implicit-def: $vgpr3
                                        ; implicit-def: $vgpr22
                                        ; implicit-def: $vgpr29
                                        ; implicit-def: $vgpr30
	s_and_saveexec_b64 s[2:3], s[0:1]
	s_cbranch_execz .LBB0_5
; %bb.4:
	v_add_u32_e32 v4, 0x400, v45
	ds_read2_b32 v[0:1], v45 offset1:77
	ds_read2_b32 v[2:3], v45 offset0:154 offset1:231
	ds_read2_b32 v[6:7], v4 offset0:52 offset1:129
	v_add_u32_e32 v4, 0x600, v45
	ds_read2_b32 v[8:9], v4 offset0:78 offset1:155
	v_add_u32_e32 v4, 0x800, v45
	v_add_u32_e32 v12, 0xc00, v45
	;; [unrolled: 1-line block ×3, first 2 shown]
	ds_read2_b32 v[10:11], v4 offset0:104 offset1:181
	ds_read2_b32 v[4:5], v12 offset0:2 offset1:79
	;; [unrolled: 1-line block ×4, first 2 shown]
	ds_read_b32 v31, v45 offset:4928
	s_waitcnt lgkmcnt(8)
	v_lshrrev_b32_e32 v30, 16, v1
	s_waitcnt lgkmcnt(7)
	v_lshrrev_b32_e32 v29, 16, v2
	v_lshrrev_b32_e32 v22, 16, v3
	s_waitcnt lgkmcnt(6)
	v_lshrrev_b32_e32 v21, 16, v6
	;; [unrolled: 3-line block ×8, first 2 shown]
.LBB0_5:
	s_or_b64 exec, exec, s[2:3]
	v_sub_f16_e32 v47, v30, v41
	v_add_f16_e32 v56, v31, v1
	s_movk_i32 s3, 0x39e9
	v_mul_f16_e32 v42, 0xb964, v47
	v_sub_f16_e32 v48, v29, v40
	v_fma_f16 v17, v56, s3, v42
	s_movk_i32 s2, 0x2de8
	v_add_f16_e32 v59, v15, v2
	v_mul_f16_e32 v43, 0xbbf7, v48
	v_add_f16_e32 v17, v17, v0
	v_fma_f16 v18, v59, s2, v43
	s_movk_i32 s8, 0x3722
	v_mul_f16_e32 v44, 0xbb29, v47
	v_add_f16_e32 v17, v18, v17
	v_fma_f16 v18, v56, s8, v44
	s_mov_b32 s9, 0xb8d2
	v_mul_f16_e32 v52, 0xba62, v48
	v_sub_f16_e32 v49, v22, v39
	v_add_f16_e32 v18, v18, v0
	v_fma_f16 v23, v59, s9, v52
	v_add_f16_e32 v62, v14, v3
	v_mul_f16_e32 v53, 0xba62, v49
	v_add_f16_e32 v18, v23, v18
	v_fma_f16 v23, v62, s9, v53
	s_mov_b32 s10, 0xbbdd
	v_mul_f16_e32 v54, 0x31e1, v49
	v_sub_f16_e32 v50, v21, v37
	v_add_f16_e32 v17, v23, v17
	v_fma_f16 v23, v62, s10, v54
	v_add_f16_e32 v65, v13, v6
	v_mul_f16_e32 v55, 0xb1e1, v50
	v_add_f16_e32 v18, v23, v18
	v_fma_f16 v23, v65, s10, v55
	s_mov_b32 s11, 0xb461
	v_mul_f16_e32 v57, 0x3bb2, v50
	v_sub_f16_e32 v51, v20, v36
	v_add_f16_e32 v17, v23, v17
	v_fma_f16 v23, v65, s11, v57
	s_mov_b32 s14, 0xbacd
	v_add_f16_e32 v68, v12, v7
	v_mul_f16_e32 v58, 0x3836, v51
	v_add_f16_e32 v18, v23, v18
	v_fma_f16 v23, v68, s14, v58
	v_mul_f16_e32 v60, 0x3964, v51
	v_sub_f16_e32 v69, v35, v38
	v_add_f16_e32 v17, v23, v17
	v_fma_f16 v23, v68, s3, v60
	v_add_f16_e32 v71, v5, v8
	v_mul_f16_e32 v61, 0x3bb2, v69
	v_add_f16_e32 v18, v23, v18
	v_fma_f16 v23, v71, s11, v61
	s_movk_i32 s15, 0x3b76
	v_mul_f16_e32 v63, 0xb5c8, v69
	v_sub_f16_e32 v77, v34, v19
	v_add_f16_e32 v17, v23, v17
	v_fma_f16 v23, v71, s15, v63
	v_add_f16_e32 v72, v4, v9
	v_mul_f16_e32 v64, 0x3b29, v77
	v_add_f16_e32 v18, v23, v18
	v_fma_f16 v23, v72, s8, v64
	v_mul_f16_e32 v66, 0xbbf7, v77
	v_sub_f16_e32 v80, v33, v32
	v_add_f16_e32 v17, v23, v17
	v_fma_f16 v23, v72, s2, v66
	v_add_f16_e32 v85, v11, v10
	v_mul_f16_e32 v67, 0x35c8, v80
	v_add_f16_e32 v23, v23, v18
	v_fma_f16 v18, v85, s15, v67
	v_mul_f16_e32 v70, 0xb836, v80
	v_add_f16_e32 v18, v18, v17
	v_fma_f16 v17, v85, s14, v70
	;; [unrolled: 3-line block ×18, first 2 shown]
	v_mul_f16_e32 v27, 0xb836, v47
	v_add_f16_e32 v25, v23, v24
	v_fma_f16 v23, v56, s14, -v27
	v_mul_f16_e32 v28, 0x3b29, v48
	v_add_f16_e32 v23, v23, v0
	v_fma_f16 v24, v59, s8, -v28
	;; [unrolled: 3-line block ×4, first 2 shown]
	v_add_f16_e32 v24, v84, v24
	v_mul_f16_e32 v84, 0xbbf7, v49
	v_fma_f16 v86, v62, s2, -v84
	v_add_f16_e32 v23, v86, v23
	v_mul_f16_e32 v86, 0xb836, v49
	v_fma_f16 v87, v62, s14, -v86
	;; [unrolled: 3-line block ×4, first 2 shown]
	v_add_f16_e32 v24, v92, v24
	v_mul_f16_e32 v92, 0xb5c8, v51
	v_fma_f16 v27, v56, s14, v27
	v_fma_f16 v95, v68, s15, -v92
	v_add_f16_e32 v27, v27, v0
	v_fma_f16 v28, v59, s8, v28
	v_add_f16_e32 v23, v95, v23
	v_mul_f16_e32 v95, 0xba62, v51
	v_add_f16_e32 v27, v28, v27
	v_fma_f16 v28, v56, s10, v81
	v_fma_f16 v96, v68, s9, -v95
	v_add_f16_e32 v28, v28, v0
	v_fma_f16 v81, v59, s15, v83
	v_add_f16_e32 v24, v96, v24
	v_mul_f16_e32 v96, 0xb1e1, v69
	v_add_f16_e32 v28, v81, v28
	v_fma_f16 v81, v62, s2, v84
	v_fma_f16 v101, v71, s10, -v96
	v_add_f16_e32 v27, v81, v27
	v_fma_f16 v81, v62, s14, v86
	v_add_f16_e32 v23, v101, v23
	v_mul_f16_e32 v101, 0x3b29, v69
	v_add_f16_e32 v28, v81, v28
	v_fma_f16 v81, v65, s9, v87
	v_fma_f16 v102, v71, s8, -v101
	v_add_f16_e32 v27, v81, v27
	v_fma_f16 v81, v65, s3, v89
	v_add_f16_e32 v24, v102, v24
	v_mul_f16_e32 v102, 0x3964, v77
	v_add_f16_e32 v28, v81, v28
	v_fma_f16 v81, v68, s15, v92
	v_fma_f16 v103, v72, s3, -v102
	v_add_f16_e32 v27, v81, v27
	v_fma_f16 v81, v68, s9, v95
	v_add_f16_e32 v23, v103, v23
	v_mul_f16_e32 v103, 0xbbb2, v77
	v_add_f16_e32 v28, v81, v28
	v_fma_f16 v81, v71, s10, v96
	v_fma_f16 v104, v72, s11, -v103
	v_add_f16_e32 v27, v81, v27
	v_fma_f16 v81, v71, s8, v101
	v_add_f16_e32 v24, v104, v24
	v_mul_f16_e32 v104, 0xbbb2, v80
	v_add_f16_e32 v28, v81, v28
	v_fma_f16 v81, v72, s3, v102
	v_fma_f16 v105, v85, s11, -v104
	v_add_f16_e32 v27, v81, v27
	v_fma_f16 v81, v72, s11, v103
	v_add_f16_e32 v23, v105, v23
	v_mul_f16_e32 v105, 0x3bf7, v80
	v_add_f16_e32 v81, v81, v28
	v_fma_f16 v28, v85, s11, v104
	v_add_f16_e32 v28, v28, v27
	v_fma_f16 v27, v85, s2, v105
	v_add_f16_e32 v27, v27, v81
	v_mul_f16_e32 v81, 0xb5c8, v47
	v_fma_f16 v83, v56, s15, v81
	v_add_f16_e32 v84, v83, v0
	v_mul_f16_e32 v83, 0xb964, v48
	v_fma_f16 v86, v59, s3, v83
	v_add_f16_e32 v84, v86, v84
	v_sub_f16_e32 v86, v1, v31
	v_add_f16_e32 v144, v41, v30
	v_mul_f16_e32 v95, 0xb5c8, v86
	v_sub_f16_e32 v89, v2, v15
	v_fma_f16 v87, v144, s15, -v95
	v_add_f16_e32 v139, v40, v29
	v_mul_f16_e32 v96, 0xb964, v89
	v_add_f16_sdwa v87, v87, v0 dst_sel:DWORD dst_unused:UNUSED_PAD src0_sel:DWORD src1_sel:WORD_1
	v_fma_f16 v92, v139, s3, -v96
	v_mul_f16_e32 v101, 0xb964, v86
	v_add_f16_e32 v87, v92, v87
	v_fma_f16 v92, v144, s3, -v101
	v_mul_f16_e32 v102, 0xbbf7, v89
	v_mul_f16_e32 v109, 0xbbf7, v47
	v_fma_f16 v106, v85, s2, -v105
	v_add_f16_sdwa v92, v92, v0 dst_sel:DWORD dst_unused:UNUSED_PAD src0_sel:DWORD src1_sel:WORD_1
	v_fma_f16 v103, v139, s2, -v102
	v_mul_f16_e32 v105, 0xbb29, v86
	v_fma_f16 v47, v56, s2, v109
	v_mul_f16_e32 v111, 0xb1e1, v48
	v_add_f16_e32 v92, v103, v92
	v_fma_f16 v103, v144, s8, -v105
	v_mul_f16_e32 v107, 0xba62, v89
	v_add_f16_e32 v47, v47, v0
	v_fma_f16 v48, v59, s10, v111
	v_mul_f16_e32 v113, 0xbbf7, v86
	v_add_f16_sdwa v103, v103, v0 dst_sel:DWORD dst_unused:UNUSED_PAD src0_sel:DWORD src1_sel:WORD_1
	v_fma_f16 v104, v139, s9, -v107
	v_add_f16_e32 v47, v48, v47
	v_fma_f16 v48, v144, s2, -v113
	v_mul_f16_e32 v114, 0xb1e1, v89
	v_add_f16_e32 v24, v106, v24
	v_add_f16_e32 v106, v104, v103
	v_add_f16_sdwa v48, v48, v0 dst_sel:DWORD dst_unused:UNUSED_PAD src0_sel:DWORD src1_sel:WORD_1
	v_fma_f16 v103, v139, s10, -v114
	v_mul_f16_e32 v120, 0xbbb2, v86
	v_add_f16_e32 v48, v103, v48
	v_fma_f16 v103, v144, s11, -v120
	v_mul_f16_e32 v121, 0x3836, v89
	v_add_f16_sdwa v103, v103, v0 dst_sel:DWORD dst_unused:UNUSED_PAD src0_sel:DWORD src1_sel:WORD_1
	v_fma_f16 v104, v139, s14, -v121
	v_mul_f16_e32 v128, 0xba62, v86
	v_add_f16_e32 v108, v104, v103
	v_fma_f16 v103, v144, s9, -v128
	v_mul_f16_e32 v129, 0x3bb2, v89
	v_add_f16_sdwa v103, v103, v0 dst_sel:DWORD dst_unused:UNUSED_PAD src0_sel:DWORD src1_sel:WORD_1
	v_fma_f16 v104, v139, s11, -v129
	v_add_f16_e32 v112, v104, v103
	v_mul_f16_e32 v103, 0xb836, v86
	v_fma_f16 v104, v144, s14, v103
	v_mul_f16_e32 v110, 0x3b29, v89
	v_add_f16_sdwa v104, v104, v0 dst_sel:DWORD dst_unused:UNUSED_PAD src0_sel:DWORD src1_sel:WORD_1
	v_fma_f16 v115, v139, s8, v110
	v_fma_f16 v103, v144, s14, -v103
	v_add_f16_e32 v115, v115, v104
	v_add_f16_sdwa v103, v103, v0 dst_sel:DWORD dst_unused:UNUSED_PAD src0_sel:DWORD src1_sel:WORD_1
	v_fma_f16 v104, v139, s8, -v110
	v_mul_f16_e32 v86, 0xb1e1, v86
	v_add_f16_e32 v116, v104, v103
	v_fma_f16 v103, v144, s10, v86
	v_mul_f16_e32 v89, 0x35c8, v89
	v_add_f16_sdwa v103, v103, v0 dst_sel:DWORD dst_unused:UNUSED_PAD src0_sel:DWORD src1_sel:WORD_1
	v_fma_f16 v104, v139, s15, v89
	v_fma_f16 v86, v144, s10, -v86
	v_add_f16_e32 v118, v104, v103
	v_add_f16_sdwa v86, v86, v0 dst_sel:DWORD dst_unused:UNUSED_PAD src0_sel:DWORD src1_sel:WORD_1
	v_fma_f16 v89, v139, s15, -v89
	v_mul_f16_e32 v103, 0xbb29, v49
	v_add_f16_e32 v86, v89, v86
	v_fma_f16 v89, v62, s8, v103
	v_add_f16_e32 v84, v89, v84
	v_sub_f16_e32 v89, v3, v14
	v_add_f16_e32 v151, v39, v22
	v_mul_f16_e32 v104, 0xbb29, v89
	v_fma_f16 v110, v151, s8, -v104
	v_add_f16_e32 v87, v110, v87
	v_mul_f16_e32 v110, 0xba62, v89
	v_fma_f16 v117, v151, s9, -v110
	;; [unrolled: 3-line block ×3, first 2 shown]
	v_add_f16_e32 v122, v119, v106
	v_mul_f16_e32 v119, 0x3bb2, v49
	v_fma_f16 v49, v62, s11, v119
	v_mul_f16_e32 v125, 0x3bb2, v89
	v_mul_f16_e32 v143, 0xb5c8, v89
	v_add_f16_e32 v47, v49, v47
	v_fma_f16 v49, v151, s11, -v125
	v_mul_f16_e32 v134, 0x3964, v89
	v_fma_f16 v106, v151, s15, -v143
	v_add_f16_e32 v48, v49, v48
	v_fma_f16 v49, v151, s3, -v134
	v_add_f16_e32 v112, v106, v112
	v_mul_f16_e32 v106, 0xbbf7, v89
	v_add_f16_e32 v49, v49, v108
	v_fma_f16 v108, v151, s2, v106
	v_fma_f16 v106, v151, s2, -v106
	v_mul_f16_e32 v89, 0xb836, v89
	v_add_f16_e32 v123, v106, v116
	v_fma_f16 v106, v151, s14, v89
	v_add_f16_e32 v118, v106, v118
	v_fma_f16 v89, v151, s14, -v89
	v_mul_f16_e32 v106, 0xbbf7, v50
	v_add_f16_e32 v86, v89, v86
	v_fma_f16 v89, v65, s2, v106
	v_add_f16_e32 v84, v89, v84
	v_sub_f16_e32 v89, v6, v13
	v_add_f16_e32 v115, v108, v115
	v_add_f16_e32 v157, v37, v21
	v_mul_f16_e32 v108, 0xbbf7, v89
	v_mul_f16_e32 v127, 0x35c8, v50
	v_fma_f16 v116, v157, s2, -v108
	v_fma_f16 v50, v65, s15, v127
	v_mul_f16_e32 v133, 0x35c8, v89
	v_add_f16_e32 v87, v116, v87
	v_mul_f16_e32 v116, 0xb1e1, v89
	v_add_f16_e32 v47, v50, v47
	v_fma_f16 v50, v157, s15, -v133
	v_mul_f16_e32 v142, 0xbb29, v89
	v_fma_f16 v124, v157, s10, -v116
	v_add_f16_e32 v48, v50, v48
	v_fma_f16 v50, v157, s8, -v142
	v_mul_f16_e32 v150, 0xb836, v89
	v_add_f16_e32 v92, v124, v92
	v_mul_f16_e32 v124, 0x3bb2, v89
	v_add_f16_e32 v49, v50, v49
	v_fma_f16 v50, v157, s14, -v150
	v_fma_f16 v126, v157, s11, -v124
	v_add_f16_e32 v50, v50, v112
	v_mul_f16_e32 v112, 0x3a62, v89
	v_add_f16_e32 v122, v126, v122
	v_fma_f16 v126, v157, s9, v112
	v_fma_f16 v112, v157, s9, -v112
	v_mul_f16_e32 v89, 0x3964, v89
	v_add_f16_e32 v130, v112, v123
	v_fma_f16 v112, v157, s3, v89
	v_add_f16_e32 v118, v112, v118
	v_fma_f16 v89, v157, s3, -v89
	v_mul_f16_e32 v112, 0xbbb2, v51
	v_add_f16_e32 v86, v89, v86
	v_fma_f16 v89, v68, s11, v112
	v_add_f16_e32 v84, v89, v84
	v_sub_f16_e32 v89, v7, v12
	v_mul_f16_e32 v136, 0xbb29, v51
	v_add_f16_e32 v126, v126, v115
	v_add_f16_e32 v159, v36, v20
	v_mul_f16_e32 v115, 0xbbb2, v89
	v_fma_f16 v51, v68, s8, v136
	v_mul_f16_e32 v141, 0xbb29, v89
	v_fma_f16 v123, v159, s11, -v115
	v_add_f16_e32 v47, v51, v47
	v_fma_f16 v51, v159, s8, -v141
	v_mul_f16_e32 v149, 0xb1e1, v89
	v_add_f16_e32 v87, v123, v87
	v_mul_f16_e32 v123, 0x3836, v89
	v_add_f16_e32 v48, v51, v48
	v_fma_f16 v51, v159, s10, -v149
	v_mul_f16_e32 v156, 0x3bf7, v89
	v_fma_f16 v131, v159, s14, -v123
	v_mul_f16_e32 v132, 0x3964, v89
	v_add_f16_e32 v49, v51, v49
	v_fma_f16 v51, v159, s2, -v156
	v_add_f16_e32 v92, v131, v92
	v_fma_f16 v131, v159, s3, -v132
	v_add_f16_e32 v50, v51, v50
	v_mul_f16_e32 v51, 0xb5c8, v89
	v_add_f16_e32 v135, v131, v122
	v_fma_f16 v122, v159, s15, v51
	v_mul_f16_e32 v89, 0xba62, v89
	v_add_f16_e32 v126, v122, v126
	v_fma_f16 v51, v159, s15, -v51
	v_fma_f16 v122, v159, s9, v89
	v_add_f16_e32 v51, v51, v130
	v_add_f16_e32 v130, v122, v118
	v_fma_f16 v89, v159, s9, -v89
	v_mul_f16_e32 v118, 0xba62, v69
	v_add_f16_e32 v86, v89, v86
	v_fma_f16 v89, v71, s9, v118
	v_add_f16_e32 v84, v89, v84
	v_sub_f16_e32 v89, v8, v5
	v_mul_f16_e32 v145, 0xb836, v69
	v_add_f16_e32 v163, v38, v35
	v_mul_f16_e32 v122, 0xba62, v89
	v_fma_f16 v69, v71, s14, v145
	v_mul_f16_e32 v148, 0xb836, v89
	v_fma_f16 v131, v163, s9, -v122
	v_add_f16_e32 v47, v69, v47
	v_fma_f16 v69, v163, s14, -v148
	v_mul_f16_e32 v155, 0x3bf7, v89
	v_add_f16_e32 v87, v131, v87
	v_mul_f16_e32 v131, 0x3bb2, v89
	v_add_f16_e32 v48, v69, v48
	v_fma_f16 v69, v163, s2, -v155
	v_mul_f16_e32 v162, 0xb964, v89
	v_fma_f16 v137, v163, s11, -v131
	v_mul_f16_e32 v140, 0xb5c8, v89
	v_add_f16_e32 v49, v69, v49
	v_fma_f16 v69, v163, s3, -v162
	v_add_f16_e32 v92, v137, v92
	v_fma_f16 v137, v163, s15, -v140
	v_add_f16_e32 v50, v69, v50
	v_mul_f16_e32 v69, 0xb1e1, v89
	v_add_f16_e32 v135, v137, v135
	v_fma_f16 v137, v163, s10, v69
	v_fma_f16 v69, v163, s10, -v69
	v_add_f16_e32 v51, v69, v51
	v_mul_f16_e32 v69, 0x3b29, v89
	v_add_f16_e32 v137, v137, v126
	v_fma_f16 v89, v163, s8, v69
	v_fma_f16 v69, v163, s8, -v69
	v_mul_f16_e32 v126, 0xb836, v77
	v_add_f16_e32 v69, v69, v86
	v_fma_f16 v86, v72, s14, v126
	v_add_f16_e32 v84, v86, v84
	v_sub_f16_e32 v86, v9, v4
	v_mul_f16_e32 v152, 0x3a62, v77
	v_add_f16_e32 v166, v19, v34
	v_fma_f16 v77, v72, s9, v152
	v_mul_f16_e32 v154, 0x3a62, v86
	v_add_f16_e32 v89, v89, v130
	v_mul_f16_e32 v130, 0xb836, v86
	v_add_f16_e32 v47, v77, v47
	v_fma_f16 v77, v166, s9, -v154
	v_mul_f16_e32 v161, 0xb5c8, v86
	v_fma_f16 v138, v166, s14, -v130
	v_add_f16_e32 v164, v77, v48
	v_fma_f16 v48, v166, s15, -v161
	v_mul_f16_e32 v165, 0xb1e1, v86
	v_add_f16_e32 v87, v138, v87
	v_mul_f16_e32 v138, 0x3b29, v86
	v_add_f16_e32 v168, v48, v49
	v_fma_f16 v48, v166, s10, -v165
	v_fma_f16 v146, v166, s8, -v138
	v_mul_f16_e32 v147, 0xbbf7, v86
	v_add_f16_e32 v169, v48, v50
	v_mul_f16_e32 v48, 0x3964, v86
	v_sub_f16_e32 v174, v10, v11
	v_add_f16_e32 v92, v146, v92
	v_fma_f16 v146, v166, s2, -v147
	v_fma_f16 v49, v166, s3, v48
	v_fma_f16 v48, v166, s3, -v48
	v_add_f16_e32 v167, v32, v33
	v_mul_f16_e32 v153, 0xb836, v174
	v_add_f16_e32 v158, v146, v135
	v_add_f16_e32 v171, v48, v51
	v_mul_f16_e32 v48, 0xbbb2, v86
	v_fma_f16 v51, v167, s14, -v153
	v_add_f16_e32 v170, v49, v137
	v_fma_f16 v49, v166, s11, v48
	v_fma_f16 v48, v166, s11, -v48
	v_add_f16_e32 v51, v51, v158
	v_mul_f16_e32 v158, 0x3964, v80
	v_add_f16_e32 v173, v48, v69
	v_fma_f16 v69, v85, s3, v158
	v_mul_f16_e32 v160, 0x3964, v174
	v_add_f16_e32 v77, v69, v47
	v_fma_f16 v47, v167, s3, -v160
	v_mul_f16_e32 v135, 0xb1e1, v80
	v_add_f16_e32 v80, v47, v164
	v_mul_f16_e32 v164, 0xba62, v174
	v_fma_f16 v48, v85, s10, v135
	v_fma_f16 v47, v167, s9, -v164
	v_add_f16_e32 v48, v48, v84
	v_add_f16_e32 v84, v47, v168
	v_mul_f16_e32 v168, 0x3b29, v174
	v_fma_f16 v47, v167, s8, -v168
	v_add_f16_e32 v86, v47, v169
	v_mul_f16_e32 v47, 0xbbb2, v174
	s_load_dwordx2 s[8:9], s[4:5], 0x20
	s_nop 0
	s_load_dwordx2 s[4:5], s[4:5], 0x8
	v_mul_f16_e32 v137, 0xb1e1, v174
	v_fma_f16 v69, v167, s11, v47
	v_fma_f16 v47, v167, s11, -v47
	v_add_f16_e32 v172, v49, v89
	v_fma_f16 v49, v167, s10, -v137
	v_mul_f16_e32 v146, 0x35c8, v174
	v_add_f16_e32 v89, v47, v171
	v_mul_f16_e32 v47, 0x3bf7, v174
	v_add_f16_e32 v49, v49, v87
	v_fma_f16 v50, v167, s15, -v146
	v_fma_f16 v87, v167, s2, v47
	v_fma_f16 v47, v167, s2, -v47
	v_add_f16_e32 v50, v50, v92
	v_add_f16_e32 v69, v69, v170
	;; [unrolled: 1-line block ×4, first 2 shown]
	v_mul_lo_u16_e32 v47, 17, v46
	s_waitcnt lgkmcnt(0)
	s_barrier
	s_and_saveexec_b64 s[2:3], s[0:1]
	s_cbranch_execz .LBB0_7
; %bb.6:
	v_mul_f16_e32 v169, 0x3b76, v56
	v_mul_f16_e32 v171, 0x39e9, v56
	;; [unrolled: 1-line block ×12, first 2 shown]
	v_sub_f16_e32 v56, v56, v90
	v_mul_f16_e32 v189, 0x3722, v62
	v_mul_f16_e32 v191, 0xb8d2, v62
	v_mul_f16_e32 v193, 0xbbdd, v62
	v_mul_f16_e32 v195, 0xb461, v62
	v_mul_f16_e32 v197, 0x39e9, v62
	v_mul_f16_e32 v62, 0x3b76, v62
	v_add_f16_e32 v56, v56, v0
	v_sub_f16_e32 v59, v59, v91
	v_mul_f16_e32 v199, 0x2de8, v65
	v_mul_f16_e32 v201, 0xbbdd, v65
	v_mul_f16_e32 v203, 0xb461, v65
	v_mul_f16_e32 v205, 0x3b76, v65
	v_mul_f16_e32 v207, 0x3722, v65
	v_mul_f16_e32 v65, 0xbacd, v65
	v_add_f16_e32 v56, v59, v56
	;; [unrolled: 8-line block ×6, first 2 shown]
	v_sub_f16_e32 v59, v72, v99
	v_mul_f16_e32 v178, 0xb461, v144
	v_add_f16_e32 v56, v59, v56
	v_sub_f16_e32 v59, v85, v100
	v_mul_f16_e32 v188, 0xbacd, v139
	v_add_f16_e32 v56, v59, v56
	v_add_f16_e32 v59, v120, v178
	v_mul_f16_e32 v198, 0x39e9, v151
	v_add_f16_sdwa v59, v59, v0 dst_sel:DWORD dst_unused:UNUSED_PAD src0_sel:DWORD src1_sel:WORD_1
	v_add_f16_e32 v62, v121, v188
	v_mul_f16_e32 v208, 0x3722, v157
	v_add_f16_e32 v59, v62, v59
	v_add_f16_e32 v62, v134, v198
	v_mul_f16_e32 v218, 0xbbdd, v159
	v_add_f16_e32 v59, v62, v59
	;; [unrolled: 3-line block ×5, first 2 shown]
	v_add_f16_e32 v62, v161, v238
	v_add_f16_e32 v59, v62, v59
	;; [unrolled: 1-line block ×4, first 2 shown]
	v_sub_f16_e32 v62, v177, v73
	v_add_f16_e32 v62, v62, v0
	v_sub_f16_e32 v65, v187, v74
	v_add_f16_e32 v62, v65, v62
	;; [unrolled: 2-line block ×6, first 2 shown]
	v_sub_f16_e32 v65, v237, v82
	v_mul_f16_e32 v176, 0x2de8, v144
	v_add_f16_e32 v62, v65, v62
	v_sub_f16_e32 v65, v247, v88
	v_mul_f16_e32 v186, 0xbbdd, v139
	v_add_f16_e32 v62, v65, v62
	v_add_f16_e32 v65, v113, v176
	v_sub_f16_e32 v42, v171, v42
	v_mul_f16_e32 v196, 0xb461, v151
	v_add_f16_sdwa v65, v65, v0 dst_sel:DWORD dst_unused:UNUSED_PAD src0_sel:DWORD src1_sel:WORD_1
	v_add_f16_e32 v68, v114, v186
	v_add_f16_e32 v42, v42, v0
	v_sub_f16_e32 v43, v181, v43
	v_mul_f16_e32 v206, 0x3b76, v157
	v_add_f16_e32 v65, v68, v65
	v_add_f16_e32 v68, v125, v196
	v_add_f16_e32 v42, v43, v42
	v_sub_f16_e32 v43, v191, v53
	v_mul_f16_e32 v216, 0x3722, v159
	v_add_f16_e32 v65, v68, v65
	;; [unrolled: 5-line block ×7, first 2 shown]
	v_sub_f16_e32 v68, v175, v109
	v_sub_f16_e32 v44, v173, v44
	v_add_f16_e32 v42, v43, v42
	v_add_f16_e32 v43, v95, v170
	v_mul_f16_e32 v190, 0x3722, v151
	v_add_f16_e32 v68, v68, v0
	v_sub_f16_e32 v71, v185, v111
	v_add_f16_e32 v44, v44, v0
	v_sub_f16_e32 v52, v183, v52
	v_add_f16_sdwa v43, v43, v0 dst_sel:DWORD dst_unused:UNUSED_PAD src0_sel:DWORD src1_sel:WORD_1
	v_add_f16_e32 v53, v96, v180
	v_mul_f16_e32 v200, 0x2de8, v157
	v_add_f16_e32 v68, v71, v68
	v_sub_f16_e32 v71, v195, v119
	v_add_f16_e32 v44, v52, v44
	v_sub_f16_e32 v52, v193, v54
	v_add_f16_e32 v43, v53, v43
	v_add_f16_e32 v53, v104, v190
	v_mul_f16_e32 v210, 0xb461, v159
	v_add_f16_e32 v68, v71, v68
	v_sub_f16_e32 v71, v205, v127
	v_add_f16_e32 v44, v52, v44
	v_sub_f16_e32 v52, v203, v57
	v_add_f16_e32 v43, v53, v43
	;; [unrolled: 7-line block ×5, first 2 shown]
	v_add_f16_e32 v53, v130, v230
	v_mul_f16_e32 v172, 0x39e9, v144
	v_mul_f16_e32 v174, 0x3722, v144
	;; [unrolled: 1-line block ×3, first 2 shown]
	v_add_f16_e32 v68, v71, v68
	v_sub_f16_e32 v71, v245, v158
	v_add_f16_e32 v44, v52, v44
	v_sub_f16_e32 v52, v243, v70
	v_add_f16_e32 v43, v53, v43
	v_add_f16_e32 v53, v137, v240
	;; [unrolled: 1-line block ×8, first 2 shown]
	v_sub_f16_e32 v53, v169, v81
	v_add_f16_sdwa v128, v128, v0 dst_sel:DWORD dst_unused:UNUSED_PAD src0_sel:DWORD src1_sel:WORD_1
	v_add_f16_sdwa v71, v71, v0 dst_sel:DWORD dst_unused:UNUSED_PAD src0_sel:DWORD src1_sel:WORD_1
	;; [unrolled: 1-line block ×3, first 2 shown]
	v_add_f16_e32 v53, v53, v0
	v_add_f16_sdwa v30, v30, v0 dst_sel:DWORD dst_unused:UNUSED_PAD src0_sel:DWORD src1_sel:WORD_1
	v_add_f16_e32 v0, v1, v0
	v_mul_f16_e32 v182, 0x2de8, v139
	v_add_f16_e32 v29, v29, v30
	v_add_f16_e32 v0, v2, v0
	v_mul_f16_e32 v192, 0xb8d2, v151
	v_add_f16_e32 v54, v102, v182
	v_add_f16_e32 v22, v22, v29
	v_add_f16_e32 v0, v3, v0
	v_mul_f16_e32 v202, 0xbbdd, v157
	v_add_f16_e32 v52, v54, v52
	v_add_f16_e32 v54, v110, v192
	v_add_f16_e32 v21, v21, v22
	v_add_f16_e32 v0, v6, v0
	v_mul_f16_e32 v212, 0xbacd, v159
	v_add_f16_e32 v52, v54, v52
	;; [unrolled: 5-line block ×5, first 2 shown]
	v_add_f16_e32 v54, v138, v232
	v_add_f16_e32 v20, v33, v20
	;; [unrolled: 1-line block ×7, first 2 shown]
	v_mul_f16_e32 v184, 0xb8d2, v139
	v_add_f16_e32 v52, v54, v52
	v_sub_f16_e32 v54, v179, v83
	v_add_f16_e32 v19, v19, v20
	v_add_f16_e32 v0, v4, v0
	v_mul_f16_e32 v139, 0xb461, v139
	v_mul_f16_e32 v194, 0xbbdd, v151
	v_add_f16_e32 v72, v107, v184
	v_add_f16_e32 v53, v54, v53
	v_sub_f16_e32 v54, v189, v103
	v_add_f16_e32 v19, v38, v19
	v_add_f16_e32 v0, v5, v0
	v_mul_f16_e32 v151, 0x3b76, v151
	v_mul_f16_e32 v204, 0xb461, v157
	v_add_f16_e32 v129, v129, v139
	v_add_f16_e32 v71, v72, v71
	v_add_f16_e32 v72, v117, v194
	v_add_f16_e32 v53, v54, v53
	v_sub_f16_e32 v54, v199, v106
	v_add_f16_e32 v19, v36, v19
	v_add_f16_e32 v0, v12, v0
	v_mul_f16_e32 v157, 0xbacd, v157
	v_mul_f16_e32 v214, 0x39e9, v159
	v_add_f16_e32 v128, v129, v128
	v_add_f16_e32 v129, v143, v151
	v_add_f16_e32 v71, v72, v71
	v_add_f16_e32 v72, v124, v204
	v_add_f16_e32 v53, v54, v53
	v_sub_f16_e32 v54, v209, v112
	v_add_f16_e32 v19, v37, v19
	v_add_f16_e32 v0, v13, v0
	v_mul_f16_e32 v159, 0x2de8, v159
	v_mul_f16_e32 v224, 0x3b76, v163
	v_add_f16_e32 v128, v129, v128
	;; [unrolled: 10-line block ×4, first 2 shown]
	v_add_f16_e32 v129, v162, v163
	v_add_f16_e32 v71, v72, v71
	;; [unrolled: 1-line block ×4, first 2 shown]
	v_sub_f16_e32 v54, v239, v135
	v_add_f16_sdwa v19, v41, v19 dst_sel:WORD_1 dst_unused:UNUSED_PAD src0_sel:DWORD src1_sel:DWORD
	v_add_f16_e32 v0, v31, v0
	v_mul_f16_e32 v167, 0x3722, v167
	v_add_f16_e32 v128, v129, v128
	v_add_f16_e32 v129, v165, v166
	;; [unrolled: 1-line block ×5, first 2 shown]
	v_or_b32_e32 v0, v19, v0
	v_lshlrev_b32_e32 v1, 2, v47
	v_add_f16_e32 v128, v129, v128
	v_add_f16_e32 v129, v168, v167
	;; [unrolled: 1-line block ×3, first 2 shown]
	ds_write_b32 v1, v0
	v_pack_b32_f16 v0, v42, v52
	v_pack_b32_f16 v2, v53, v43
	v_add_f16_e32 v128, v129, v128
	ds_write2_b32 v1, v2, v0 offset0:1 offset1:2
	v_pack_b32_f16 v0, v68, v65
	v_pack_b32_f16 v2, v44, v71
	ds_write2_b32 v1, v2, v0 offset0:3 offset1:4
	v_pack_b32_f16 v0, v56, v128
	v_pack_b32_f16 v2, v62, v59
	s_mov_b32 s10, 0x5040100
	ds_write2_b32 v1, v2, v0 offset0:5 offset1:6
	v_perm_b32 v0, v87, v24, s10
	v_perm_b32 v2, v69, v23, s10
	ds_write2_b32 v1, v2, v0 offset0:7 offset1:8
	v_perm_b32 v0, v89, v28, s10
	v_perm_b32 v2, v92, v27, s10
	;; [unrolled: 3-line block ×5, first 2 shown]
	ds_write2_b32 v1, v2, v0 offset0:15 offset1:16
.LBB0_7:
	s_or_b64 exec, exec, s[2:3]
	v_add_u32_e32 v0, 0x500, v45
	s_waitcnt lgkmcnt(0)
	s_barrier
	ds_read2_b32 v[10:11], v0 offset0:54 offset1:241
	v_add_u32_e32 v0, 0xb00, v45
	ds_read2_b32 v[8:9], v45 offset1:187
	ds_read2_b32 v[12:13], v0 offset0:44 offset1:231
	ds_read_b32 v14, v45 offset:4488
	s_movk_i32 s2, 0x44
	v_cmp_gt_u16_e64 s[2:3], s2, v46
	s_and_saveexec_b64 s[10:11], s[2:3]
	s_cbranch_execz .LBB0_9
; %bb.8:
	v_add_u32_e32 v0, 0x100, v45
	ds_read2_b32 v[23:24], v0 offset0:55 offset1:242
	v_add_u32_e32 v0, 0x700, v45
	v_add_u32_e32 v1, 0xd00, v45
	ds_read2_b32 v[27:28], v0 offset0:45 offset1:232
	ds_read2_b32 v[25:26], v1 offset0:35 offset1:222
	ds_read_b32 v77, v45 offset:4964
	s_waitcnt lgkmcnt(3)
	v_lshrrev_b32_e32 v69, 16, v23
	v_lshrrev_b32_e32 v87, 16, v24
	s_waitcnt lgkmcnt(2)
	v_lshrrev_b32_e32 v92, 16, v27
	v_lshrrev_b32_e32 v89, 16, v28
	;; [unrolled: 3-line block ×3, first 2 shown]
	s_waitcnt lgkmcnt(0)
	v_lshrrev_b32_e32 v80, 16, v77
.LBB0_9:
	s_or_b64 exec, exec, s[10:11]
	s_movk_i32 s10, 0xf1
	v_mul_lo_u16_sdwa v0, v46, s10 dst_sel:DWORD dst_unused:UNUSED_PAD src0_sel:BYTE_0 src1_sel:DWORD
	v_lshrrev_b16_e32 v32, 12, v0
	v_mul_lo_u16_e32 v0, 17, v32
	v_sub_u16_e32 v0, v46, v0
	v_and_b32_e32 v33, 0xff, v0
	v_add_u16_e32 v1, 0x77, v46
	v_mul_u32_u24_e32 v0, 6, v33
	v_mul_lo_u16_sdwa v2, v1, s10 dst_sel:DWORD dst_unused:UNUSED_PAD src0_sel:BYTE_0 src1_sel:DWORD
	v_lshlrev_b32_e32 v0, 2, v0
	v_lshrrev_b16_e32 v52, 12, v2
	global_load_dwordx4 v[4:7], v0, s[4:5]
	global_load_dwordx2 v[21:22], v0, s[4:5] offset:16
	v_mul_lo_u16_e32 v2, 17, v52
	v_sub_u16_e32 v1, v1, v2
	v_and_b32_e32 v53, 0xff, v1
	v_mul_u32_u24_e32 v0, 6, v53
	v_lshlrev_b32_e32 v15, 2, v0
	global_load_dwordx4 v[0:3], v15, s[4:5]
	global_load_dwordx2 v[19:20], v15, s[4:5] offset:16
	s_waitcnt lgkmcnt(2)
	v_lshrrev_b32_e32 v15, 16, v9
	v_lshrrev_b32_e32 v29, 16, v10
	s_waitcnt lgkmcnt(1)
	v_lshrrev_b32_e32 v34, 16, v13
	s_waitcnt lgkmcnt(0)
	v_lshrrev_b32_e32 v35, 16, v14
	v_lshrrev_b32_e32 v30, 16, v11
	;; [unrolled: 1-line block ×3, first 2 shown]
	s_movk_i32 s14, 0x2b26
	s_movk_i32 s15, 0x3b00
	s_mov_b32 s16, 0xbcab
	s_movk_i32 s17, 0x39e0
	s_mov_b32 s18, 0xb9e0
	;; [unrolled: 2-line block ×3, first 2 shown]
	s_movk_i32 s21, 0x370e
	s_load_dwordx4 s[8:11], s[8:9], 0x0
	v_mul_u32_u24_e32 v32, 0x77, v32
	s_waitcnt vmcnt(0) lgkmcnt(0)
	s_barrier
	v_mul_f16_sdwa v36, v15, v4 dst_sel:DWORD dst_unused:UNUSED_PAD src0_sel:DWORD src1_sel:WORD_1
	v_mul_f16_sdwa v37, v9, v4 dst_sel:DWORD dst_unused:UNUSED_PAD src0_sel:DWORD src1_sel:WORD_1
	;; [unrolled: 1-line block ×12, first 2 shown]
	v_fma_f16 v9, v9, v4, -v36
	v_fma_f16 v15, v15, v4, v37
	v_fma_f16 v10, v10, v5, -v38
	v_fma_f16 v29, v29, v5, v39
	;; [unrolled: 2-line block ×6, first 2 shown]
	v_add_f16_e32 v43, v9, v14
	v_add_f16_e32 v44, v15, v35
	v_sub_f16_e32 v9, v9, v14
	v_sub_f16_e32 v14, v15, v35
	v_add_f16_e32 v15, v10, v13
	v_add_f16_e32 v35, v29, v34
	v_sub_f16_e32 v10, v10, v13
	v_sub_f16_e32 v13, v29, v34
	;; [unrolled: 4-line block ×3, first 2 shown]
	v_add_f16_e32 v30, v15, v43
	v_add_f16_e32 v31, v35, v44
	v_mul_f16_sdwa v57, v87, v0 dst_sel:DWORD dst_unused:UNUSED_PAD src0_sel:DWORD src1_sel:WORD_1
	v_mul_f16_sdwa v58, v24, v0 dst_sel:DWORD dst_unused:UNUSED_PAD src0_sel:DWORD src1_sel:WORD_1
	;; [unrolled: 1-line block ×3, first 2 shown]
	v_sub_f16_e32 v54, v15, v43
	v_sub_f16_e32 v43, v43, v29
	;; [unrolled: 1-line block ×3, first 2 shown]
	v_add_f16_e32 v29, v29, v30
	v_add_f16_e32 v30, v34, v31
	v_mul_f16_sdwa v60, v27, v1 dst_sel:DWORD dst_unused:UNUSED_PAD src0_sel:DWORD src1_sel:WORD_1
	v_fma_f16 v24, v24, v0, -v57
	v_fma_f16 v36, v87, v0, v58
	v_fma_f16 v27, v27, v1, -v59
	v_sub_f16_e32 v55, v35, v44
	v_sub_f16_e32 v44, v44, v34
	;; [unrolled: 1-line block ×3, first 2 shown]
	v_add_f16_e32 v56, v11, v10
	v_add_f16_e32 v57, v12, v13
	v_sub_f16_e32 v58, v11, v10
	v_sub_f16_e32 v59, v12, v13
	v_sub_f16_e32 v10, v10, v9
	v_add_f16_e32 v31, v29, v8
	v_add_f16_sdwa v8, v30, v8 dst_sel:DWORD dst_unused:UNUSED_PAD src0_sel:DWORD src1_sel:WORD_1
	v_mul_f16_sdwa v61, v89, v2 dst_sel:DWORD dst_unused:UNUSED_PAD src0_sel:DWORD src1_sel:WORD_1
	v_fma_f16 v37, v92, v1, v60
	v_sub_f16_e32 v11, v9, v11
	v_sub_f16_e32 v12, v14, v12
	;; [unrolled: 1-line block ×3, first 2 shown]
	v_add_f16_e32 v9, v56, v9
	v_add_f16_e32 v14, v57, v14
	v_lshlrev_b32_e32 v34, 16, v8
	v_mul_f16_e32 v43, 0x3a52, v43
	v_mul_f16_e32 v44, 0x3a52, v44
	;; [unrolled: 1-line block ×7, first 2 shown]
	v_mul_f16_sdwa v62, v28, v2 dst_sel:DWORD dst_unused:UNUSED_PAD src0_sel:DWORD src1_sel:WORD_1
	v_mul_f16_sdwa v65, v84, v19 dst_sel:DWORD dst_unused:UNUSED_PAD src0_sel:DWORD src1_sel:WORD_1
	;; [unrolled: 1-line block ×5, first 2 shown]
	v_fma_f16 v28, v28, v2, -v61
	v_or_b32_e32 v34, v34, v31
	v_mul_f16_e32 v61, 0x3b00, v13
	v_fma_f16 v29, v29, s16, v31
	v_fma_f16 v8, v30, s16, v8
	;; [unrolled: 1-line block ×4, first 2 shown]
	v_fma_f16 v31, v54, s17, -v56
	v_fma_f16 v35, v55, s17, -v57
	;; [unrolled: 1-line block ×4, first 2 shown]
	v_fma_f16 v54, v11, s19, v58
	v_fma_f16 v10, v10, s15, -v58
	v_fma_f16 v13, v13, s15, -v59
	;; [unrolled: 1-line block ×3, first 2 shown]
	v_mul_f16_sdwa v63, v86, v3 dst_sel:DWORD dst_unused:UNUSED_PAD src0_sel:DWORD src1_sel:WORD_1
	v_mul_f16_sdwa v64, v25, v3 dst_sel:DWORD dst_unused:UNUSED_PAD src0_sel:DWORD src1_sel:WORD_1
	v_fma_f16 v26, v26, v19, -v65
	v_fma_f16 v40, v84, v19, v66
	v_fma_f16 v41, v77, v20, -v67
	v_fma_f16 v42, v80, v20, v68
	v_fma_f16 v55, v12, s19, v59
	v_fma_f16 v12, v12, s20, -v61
	v_add_f16_e32 v15, v15, v29
	v_add_f16_e32 v30, v30, v8
	;; [unrolled: 1-line block ×6, first 2 shown]
	v_fma_f16 v43, v9, s21, v54
	v_fma_f16 v10, v9, s21, v10
	;; [unrolled: 1-line block ×5, first 2 shown]
	v_fma_f16 v25, v25, v3, -v63
	v_fma_f16 v39, v86, v3, v64
	v_fma_f16 v44, v14, s21, v55
	;; [unrolled: 1-line block ×3, first 2 shown]
	v_sub_f16_e32 v61, v8, v9
	v_sub_f16_e32 v62, v31, v13
	v_add_f16_e32 v64, v13, v31
	v_add_f16_e32 v66, v9, v8
	;; [unrolled: 1-line block ×9, first 2 shown]
	v_sub_f16_e32 v35, v35, v10
	v_sub_f16_e32 v65, v29, v11
	;; [unrolled: 1-line block ×7, first 2 shown]
	v_add_f16_e32 v24, v28, v25
	v_add_f16_e32 v26, v38, v39
	v_sub_f16_e32 v25, v25, v28
	v_sub_f16_e32 v27, v39, v38
	v_add_f16_e32 v28, v12, v8
	v_add_f16_e32 v29, v13, v9
	v_sub_f16_e32 v59, v30, v43
	v_add_f16_e32 v43, v43, v30
	v_sub_f16_e32 v30, v12, v8
	v_sub_f16_e32 v31, v13, v9
	;; [unrolled: 1-line block ×6, first 2 shown]
	v_add_f16_e32 v8, v25, v14
	v_add_f16_e32 v9, v27, v15
	v_sub_f16_e32 v38, v25, v14
	v_sub_f16_e32 v39, v27, v15
	;; [unrolled: 1-line block ×4, first 2 shown]
	v_add_f16_e32 v24, v24, v28
	v_add_f16_e32 v26, v26, v29
	v_sub_f16_e32 v25, v10, v25
	v_sub_f16_e32 v27, v11, v27
	v_add_f16_e32 v28, v8, v10
	v_add_f16_e32 v40, v9, v11
	;; [unrolled: 1-line block ×4, first 2 shown]
	v_mul_f16_e32 v10, 0x3a52, v36
	v_mul_f16_e32 v11, 0x3a52, v37
	;; [unrolled: 1-line block ×8, first 2 shown]
	v_add_lshl_u32 v54, v32, v33, 2
	v_pack_b32_f16 v32, v58, v59
	v_fma_f16 v24, v24, s16, v8
	v_fma_f16 v26, v26, s16, v9
	;; [unrolled: 1-line block ×4, first 2 shown]
	v_fma_f16 v23, v30, s17, -v23
	v_fma_f16 v29, v31, s17, -v29
	;; [unrolled: 1-line block ×4, first 2 shown]
	v_fma_f16 v41, v25, s19, v36
	v_fma_f16 v42, v27, s19, v37
	v_fma_f16 v36, v14, s15, -v36
	v_fma_f16 v37, v15, s15, -v37
	;; [unrolled: 1-line block ×4, first 2 shown]
	ds_write2_b32 v54, v34, v32 offset1:17
	v_pack_b32_f16 v32, v60, v61
	v_pack_b32_f16 v33, v62, v63
	v_add_f16_e32 v10, v12, v24
	v_add_f16_e32 v11, v13, v26
	;; [unrolled: 1-line block ×6, first 2 shown]
	v_fma_f16 v14, v28, s21, v41
	v_fma_f16 v15, v40, s21, v42
	;; [unrolled: 1-line block ×6, first 2 shown]
	ds_write2_b32 v54, v32, v33 offset0:34 offset1:51
	v_pack_b32_f16 v32, v64, v35
	v_pack_b32_f16 v33, v65, v66
	v_add_f16_e32 v26, v29, v12
	v_sub_f16_e32 v55, v23, v25
	v_sub_f16_e32 v27, v13, v31
	v_add_f16_e32 v56, v30, v24
	v_sub_f16_e32 v28, v10, v15
	v_add_f16_e32 v57, v14, v11
	ds_write2_b32 v54, v32, v33 offset0:68 offset1:85
	v_pack_b32_f16 v32, v44, v43
	ds_write_b32 v54, v32 offset:408
	s_and_saveexec_b64 s[14:15], s[2:3]
	s_cbranch_execz .LBB0_11
; %bb.10:
	v_sub_f16_e32 v11, v11, v14
	v_add_f16_e32 v10, v15, v10
	v_mul_u32_u24_e32 v14, 0x77, v52
	s_mov_b32 s16, 0x5040100
	v_add_f16_e32 v23, v25, v23
	v_sub_f16_e32 v12, v12, v29
	v_sub_f16_e32 v24, v24, v30
	v_add_f16_e32 v13, v31, v13
	v_add_lshl_u32 v14, v14, v53, 2
	v_perm_b32 v8, v9, v8, s16
	v_pack_b32_f16 v9, v10, v11
	ds_write2_b32 v14, v8, v9 offset1:17
	v_pack_b32_f16 v8, v13, v24
	v_pack_b32_f16 v9, v12, v23
	ds_write2_b32 v14, v8, v9 offset0:34 offset1:51
	v_perm_b32 v8, v55, v26, s16
	v_perm_b32 v9, v56, v27, s16
	ds_write2_b32 v14, v8, v9 offset0:68 offset1:85
	v_perm_b32 v8, v57, v28, s16
	ds_write_b32 v14, v8 offset:408
.LBB0_11:
	s_or_b64 exec, exec, s[14:15]
	v_mad_u64_u32 v[29:30], s[4:5], v46, 40, s[4:5]
	s_waitcnt lgkmcnt(0)
	s_barrier
	global_load_dwordx4 v[8:11], v[29:30], off offset:408
	global_load_dwordx4 v[12:15], v[29:30], off offset:424
	global_load_dwordx2 v[23:24], v[29:30], off offset:440
	ds_read_b32 v25, v45
	ds_read2_b32 v[29:30], v45 offset0:119 offset1:238
	v_add_u32_e32 v42, 0x400, v45
	v_add_u32_e32 v41, 0x800, v45
	;; [unrolled: 1-line block ×4, first 2 shown]
	ds_read2_b32 v[31:32], v42 offset0:101 offset1:220
	ds_read2_b32 v[33:34], v41 offset0:83 offset1:202
	;; [unrolled: 1-line block ×4, first 2 shown]
	s_waitcnt lgkmcnt(4)
	v_lshrrev_b32_e32 v43, 16, v29
	v_lshrrev_b32_e32 v44, 16, v30
	s_waitcnt lgkmcnt(3)
	v_lshrrev_b32_e32 v58, 16, v31
	v_lshrrev_b32_e32 v59, 16, v32
	;; [unrolled: 3-line block ×3, first 2 shown]
	v_lshrrev_b32_e32 v61, 16, v34
	v_lshrrev_b32_e32 v62, 16, v35
	;; [unrolled: 1-line block ×4, first 2 shown]
	s_movk_i32 s4, 0x3abb
	s_movk_i32 s5, 0x36a6
	s_mov_b32 s14, 0xb08e
	s_mov_b32 s15, 0xb93d
	;; [unrolled: 1-line block ×3, first 2 shown]
	s_waitcnt vmcnt(2)
	v_mul_f16_sdwa v66, v43, v8 dst_sel:DWORD dst_unused:UNUSED_PAD src0_sel:DWORD src1_sel:WORD_1
	v_mul_f16_sdwa v67, v29, v8 dst_sel:DWORD dst_unused:UNUSED_PAD src0_sel:DWORD src1_sel:WORD_1
	v_mul_f16_sdwa v68, v44, v9 dst_sel:DWORD dst_unused:UNUSED_PAD src0_sel:DWORD src1_sel:WORD_1
	v_mul_f16_sdwa v69, v30, v9 dst_sel:DWORD dst_unused:UNUSED_PAD src0_sel:DWORD src1_sel:WORD_1
	s_waitcnt vmcnt(0)
	v_mul_f16_sdwa v84, v65, v24 dst_sel:DWORD dst_unused:UNUSED_PAD src0_sel:DWORD src1_sel:WORD_1
	v_fma_f16 v29, v29, v8, -v66
	v_fma_f16 v43, v43, v8, v67
	v_mul_f16_sdwa v70, v58, v10 dst_sel:DWORD dst_unused:UNUSED_PAD src0_sel:DWORD src1_sel:WORD_1
	v_mul_f16_sdwa v71, v31, v10 dst_sel:DWORD dst_unused:UNUSED_PAD src0_sel:DWORD src1_sel:WORD_1
	;; [unrolled: 1-line block ×3, first 2 shown]
	v_fma_f16 v30, v30, v9, -v68
	v_fma_f16 v44, v44, v9, v69
	v_fma_f16 v38, v38, v24, -v84
	v_add_f16_e32 v66, v29, v25
	v_add_f16_sdwa v67, v43, v25 dst_sel:DWORD dst_unused:UNUSED_PAD src0_sel:DWORD src1_sel:WORD_1
	v_mul_f16_sdwa v72, v59, v11 dst_sel:DWORD dst_unused:UNUSED_PAD src0_sel:DWORD src1_sel:WORD_1
	v_mul_f16_sdwa v73, v32, v11 dst_sel:DWORD dst_unused:UNUSED_PAD src0_sel:DWORD src1_sel:WORD_1
	v_fma_f16 v31, v31, v10, -v70
	v_fma_f16 v58, v58, v10, v71
	v_add_f16_e32 v68, v29, v38
	v_sub_f16_e32 v70, v29, v38
	v_add_f16_e32 v29, v66, v30
	v_add_f16_e32 v66, v67, v44
	v_mul_f16_sdwa v74, v60, v12 dst_sel:DWORD dst_unused:UNUSED_PAD src0_sel:DWORD src1_sel:WORD_1
	v_mul_f16_sdwa v75, v33, v12 dst_sel:DWORD dst_unused:UNUSED_PAD src0_sel:DWORD src1_sel:WORD_1
	v_fma_f16 v32, v32, v11, -v72
	v_fma_f16 v59, v59, v11, v73
	v_add_f16_e32 v29, v29, v31
	v_add_f16_e32 v66, v66, v58
	v_mul_f16_sdwa v76, v61, v13 dst_sel:DWORD dst_unused:UNUSED_PAD src0_sel:DWORD src1_sel:WORD_1
	v_mul_f16_sdwa v77, v34, v13 dst_sel:DWORD dst_unused:UNUSED_PAD src0_sel:DWORD src1_sel:WORD_1
	v_fma_f16 v33, v33, v12, -v74
	v_fma_f16 v60, v60, v12, v75
	v_add_f16_e32 v29, v29, v32
	v_add_f16_e32 v66, v66, v59
	v_mul_f16_sdwa v78, v62, v14 dst_sel:DWORD dst_unused:UNUSED_PAD src0_sel:DWORD src1_sel:WORD_1
	v_mul_f16_sdwa v79, v35, v14 dst_sel:DWORD dst_unused:UNUSED_PAD src0_sel:DWORD src1_sel:WORD_1
	v_fma_f16 v34, v34, v13, -v76
	v_fma_f16 v61, v61, v13, v77
	v_add_f16_e32 v29, v29, v33
	v_add_f16_e32 v66, v66, v60
	v_mul_f16_sdwa v80, v63, v15 dst_sel:DWORD dst_unused:UNUSED_PAD src0_sel:DWORD src1_sel:WORD_1
	v_mul_f16_sdwa v81, v36, v15 dst_sel:DWORD dst_unused:UNUSED_PAD src0_sel:DWORD src1_sel:WORD_1
	v_fma_f16 v35, v35, v14, -v78
	v_fma_f16 v62, v62, v14, v79
	v_add_f16_e32 v29, v29, v34
	v_add_f16_e32 v66, v66, v61
	v_mul_f16_sdwa v82, v64, v23 dst_sel:DWORD dst_unused:UNUSED_PAD src0_sel:DWORD src1_sel:WORD_1
	v_mul_f16_sdwa v83, v37, v23 dst_sel:DWORD dst_unused:UNUSED_PAD src0_sel:DWORD src1_sel:WORD_1
	v_fma_f16 v36, v36, v15, -v80
	v_fma_f16 v63, v63, v15, v81
	v_add_f16_e32 v29, v29, v35
	v_add_f16_e32 v66, v66, v62
	v_fma_f16 v37, v37, v23, -v82
	v_fma_f16 v64, v64, v23, v83
	v_fma_f16 v65, v65, v24, v85
	v_add_f16_e32 v29, v29, v36
	v_add_f16_e32 v66, v66, v63
	v_add_f16_e32 v69, v43, v65
	v_sub_f16_e32 v43, v43, v65
	v_add_f16_e32 v29, v29, v37
	v_add_f16_e32 v66, v66, v64
	v_mul_f16_e32 v67, 0xb853, v43
	v_add_f16_e32 v29, v29, v38
	v_add_f16_sdwa v38, v66, v65 dst_sel:WORD_1 dst_unused:UNUSED_PAD src0_sel:DWORD src1_sel:DWORD
	v_fma_f16 v71, v68, s4, -v67
	v_or_b32_e32 v29, v38, v29
	v_mul_f16_e32 v38, 0xb853, v70
	v_fma_f16 v66, v68, s4, v67
	v_mul_f16_e32 v67, 0xbb47, v43
	v_mul_f16_e32 v73, 0xbb47, v70
	;; [unrolled: 1-line block ×8, first 2 shown]
	v_fma_f16 v65, v69, s4, v38
	v_fma_f16 v38, v69, s4, -v38
	v_fma_f16 v72, v68, s5, -v67
	v_fma_f16 v74, v69, s5, v73
	v_fma_f16 v67, v68, s5, v67
	v_fma_f16 v73, v69, s5, -v73
	v_fma_f16 v76, v68, s14, -v75
	v_fma_f16 v78, v69, s14, v77
	v_fma_f16 v75, v68, s14, v75
	v_fma_f16 v77, v69, s14, -v77
	v_fma_f16 v80, v68, s15, -v79
	v_fma_f16 v82, v69, s15, v81
	v_fma_f16 v79, v68, s15, v79
	v_fma_f16 v81, v69, s15, -v81
	v_fma_f16 v83, v68, s16, -v43
	v_fma_f16 v84, v69, s16, v70
	v_fma_f16 v43, v68, s16, v43
	v_fma_f16 v68, v69, s16, -v70
	v_add_f16_e32 v71, v71, v25
	v_add_f16_sdwa v65, v65, v25 dst_sel:DWORD dst_unused:UNUSED_PAD src0_sel:DWORD src1_sel:WORD_1
	v_add_f16_e32 v66, v66, v25
	v_add_f16_sdwa v38, v38, v25 dst_sel:DWORD dst_unused:UNUSED_PAD src0_sel:DWORD src1_sel:WORD_1
	;; [unrolled: 2-line block ×10, first 2 shown]
	v_add_f16_e32 v68, v30, v37
	v_sub_f16_e32 v30, v30, v37
	v_sub_f16_e32 v37, v44, v64
	v_add_f16_e32 v69, v44, v64
	v_mul_f16_e32 v44, 0xbb47, v37
	v_fma_f16 v64, v68, s5, -v44
	v_mul_f16_e32 v70, 0xbb47, v30
	v_fma_f16 v44, v68, s5, v44
	v_add_f16_e32 v44, v44, v66
	v_fma_f16 v66, v69, s5, -v70
	v_add_f16_e32 v64, v64, v71
	v_fma_f16 v71, v69, s5, v70
	v_add_f16_e32 v38, v66, v38
	v_mul_f16_e32 v66, 0xba0c, v37
	v_add_f16_e32 v65, v71, v65
	v_fma_f16 v70, v68, s15, -v66
	v_mul_f16_e32 v71, 0xba0c, v30
	v_fma_f16 v66, v68, s15, v66
	v_add_f16_e32 v70, v70, v72
	v_fma_f16 v72, v69, s15, v71
	v_add_f16_e32 v66, v66, v67
	v_fma_f16 v67, v69, s15, -v71
	v_mul_f16_e32 v71, 0x3482, v37
	v_add_f16_e32 v72, v72, v74
	v_add_f16_e32 v67, v67, v73
	v_fma_f16 v73, v68, s16, -v71
	v_mul_f16_e32 v74, 0x3482, v30
	v_fma_f16 v71, v68, s16, v71
	v_add_f16_e32 v73, v73, v76
	v_fma_f16 v76, v69, s16, v74
	v_add_f16_e32 v71, v71, v75
	v_fma_f16 v74, v69, s16, -v74
	v_mul_f16_e32 v75, 0x3beb, v37
	v_add_f16_e32 v76, v76, v78
	v_add_f16_e32 v74, v74, v77
	v_fma_f16 v77, v68, s14, -v75
	v_mul_f16_e32 v78, 0x3beb, v30
	v_add_f16_e32 v77, v77, v80
	v_fma_f16 v80, v69, s14, v78
	v_fma_f16 v78, v69, s14, -v78
	v_mul_f16_e32 v30, 0x3853, v30
	v_fma_f16 v75, v68, s14, v75
	v_add_f16_e32 v78, v78, v81
	v_mul_f16_e32 v37, 0x3853, v37
	v_fma_f16 v81, v69, s4, v30
	v_fma_f16 v30, v69, s4, -v30
	v_add_f16_e32 v75, v75, v79
	v_fma_f16 v79, v68, s4, -v37
	v_fma_f16 v37, v68, s4, v37
	v_add_f16_e32 v25, v30, v25
	v_add_f16_e32 v30, v31, v36
	v_sub_f16_e32 v31, v31, v36
	v_sub_f16_e32 v36, v58, v63
	v_add_f16_e32 v37, v37, v43
	v_add_f16_e32 v43, v58, v63
	v_mul_f16_e32 v58, 0xbbeb, v36
	v_fma_f16 v63, v30, s14, -v58
	v_add_f16_e32 v63, v63, v64
	v_mul_f16_e32 v64, 0xbbeb, v31
	v_fma_f16 v58, v30, s14, v58
	v_add_f16_e32 v44, v58, v44
	v_fma_f16 v58, v43, s14, -v64
	v_fma_f16 v68, v43, s14, v64
	v_add_f16_e32 v38, v58, v38
	v_mul_f16_e32 v58, 0x3482, v36
	v_add_f16_e32 v65, v68, v65
	v_fma_f16 v64, v30, s16, -v58
	v_mul_f16_e32 v68, 0x3482, v31
	v_fma_f16 v58, v30, s16, v58
	v_add_f16_e32 v58, v58, v66
	v_fma_f16 v66, v43, s16, -v68
	v_add_f16_e32 v66, v66, v67
	v_mul_f16_e32 v67, 0x3b47, v36
	v_add_f16_e32 v64, v64, v70
	v_fma_f16 v69, v43, s16, v68
	v_fma_f16 v68, v30, s5, -v67
	v_mul_f16_e32 v70, 0x3b47, v31
	v_fma_f16 v67, v30, s5, v67
	v_add_f16_e32 v69, v69, v72
	v_fma_f16 v72, v43, s5, v70
	v_add_f16_e32 v67, v67, v71
	v_fma_f16 v70, v43, s5, -v70
	v_mul_f16_e32 v71, 0xb853, v36
	v_add_f16_e32 v68, v68, v73
	v_add_f16_e32 v70, v70, v74
	v_fma_f16 v73, v30, s4, -v71
	v_mul_f16_e32 v74, 0xb853, v31
	v_mul_f16_e32 v31, 0xba0c, v31
	v_add_f16_e32 v73, v73, v77
	v_fma_f16 v71, v30, s4, v71
	v_mul_f16_e32 v36, 0xba0c, v36
	v_fma_f16 v77, v43, s15, v31
	v_fma_f16 v31, v43, s15, -v31
	v_add_f16_e32 v71, v71, v75
	v_fma_f16 v75, v30, s15, -v36
	v_fma_f16 v30, v30, s15, v36
	v_add_f16_e32 v25, v31, v25
	v_add_f16_e32 v31, v32, v35
	v_sub_f16_e32 v32, v32, v35
	v_sub_f16_e32 v35, v59, v62
	v_add_f16_e32 v30, v30, v37
	v_mul_f16_e32 v37, 0xba0c, v35
	v_add_f16_e32 v72, v72, v76
	v_fma_f16 v76, v43, s4, v74
	v_fma_f16 v74, v43, s4, -v74
	v_add_f16_e32 v36, v59, v62
	v_fma_f16 v43, v31, s15, -v37
	v_mul_f16_e32 v59, 0xba0c, v32
	v_fma_f16 v37, v31, s15, v37
	v_add_f16_e32 v37, v37, v44
	v_fma_f16 v44, v36, s15, -v59
	v_add_f16_e32 v38, v44, v38
	v_mul_f16_e32 v44, 0x3beb, v35
	v_add_f16_e32 v43, v43, v63
	v_fma_f16 v62, v36, s15, v59
	v_fma_f16 v59, v31, s14, -v44
	v_mul_f16_e32 v63, 0x3beb, v32
	v_fma_f16 v44, v31, s14, v44
	v_add_f16_e32 v44, v44, v58
	v_fma_f16 v58, v36, s14, -v63
	v_add_f16_e32 v59, v59, v64
	v_fma_f16 v64, v36, s14, v63
	v_add_f16_e32 v63, v58, v66
	v_mul_f16_e32 v58, 0xb853, v35
	v_add_f16_e32 v62, v62, v65
	v_fma_f16 v65, v31, s4, -v58
	v_mul_f16_e32 v66, 0xb853, v32
	v_fma_f16 v58, v31, s4, v58
	v_add_f16_e32 v67, v58, v67
	v_fma_f16 v58, v36, s4, -v66
	v_add_f16_e32 v65, v65, v68
	v_fma_f16 v68, v36, s4, v66
	v_add_f16_e32 v66, v58, v70
	v_mul_f16_e32 v58, 0xb482, v35
	v_add_f16_e32 v64, v64, v69
	v_fma_f16 v69, v31, s16, -v58
	v_mul_f16_e32 v70, 0xb482, v32
	v_fma_f16 v58, v31, s16, v58
	v_add_f16_e32 v79, v79, v83
	v_add_f16_e32 v74, v74, v78
	;; [unrolled: 1-line block ×3, first 2 shown]
	v_fma_f16 v58, v36, s16, -v70
	v_mul_f16_e32 v35, 0x3b47, v35
	v_add_f16_e32 v81, v81, v84
	v_add_f16_e32 v75, v75, v79
	;; [unrolled: 1-line block ×3, first 2 shown]
	v_fma_f16 v72, v36, s16, v70
	v_add_f16_e32 v70, v58, v74
	v_fma_f16 v58, v31, s5, -v35
	v_mul_f16_e32 v32, 0x3b47, v32
	v_fma_f16 v31, v31, s5, v35
	v_sub_f16_e32 v79, v33, v34
	v_add_f16_e32 v80, v80, v82
	v_add_f16_e32 v77, v77, v81
	;; [unrolled: 1-line block ×4, first 2 shown]
	v_fma_f16 v58, v36, s5, v32
	v_add_f16_e32 v75, v31, v30
	v_add_f16_e32 v78, v60, v61
	v_mul_f16_e32 v31, 0xb482, v79
	v_add_f16_e32 v76, v76, v80
	v_add_f16_e32 v74, v58, v77
	v_fma_f16 v30, v36, s5, -v32
	v_add_f16_e32 v77, v33, v34
	v_sub_f16_e32 v34, v60, v61
	v_fma_f16 v32, v78, s16, v31
	v_add_f16_e32 v72, v72, v76
	v_add_f16_e32 v76, v30, v25
	v_mul_f16_e32 v25, 0xb482, v34
	v_add_f16_e32 v58, v32, v62
	v_fma_f16 v31, v78, s16, -v31
	v_mul_f16_e32 v32, 0x3853, v34
	v_fma_f16 v30, v77, s16, -v25
	v_fma_f16 v25, v77, s16, v25
	v_add_f16_e32 v61, v31, v38
	v_fma_f16 v31, v77, s4, -v32
	v_mul_f16_e32 v33, 0x3853, v79
	v_fma_f16 v32, v77, s4, v32
	v_add_f16_e32 v25, v25, v37
	v_fma_f16 v35, v78, s4, v33
	v_add_f16_e32 v36, v32, v44
	v_fma_f16 v32, v78, s4, -v33
	v_mul_f16_e32 v33, 0xba0c, v34
	v_mul_f16_e32 v37, 0xba0c, v79
	v_add_f16_e32 v31, v31, v59
	v_add_f16_e32 v59, v35, v64
	;; [unrolled: 1-line block ×3, first 2 shown]
	v_fma_f16 v32, v77, s15, -v33
	v_fma_f16 v35, v78, s15, v37
	v_fma_f16 v33, v77, s15, v33
	v_add_f16_e32 v30, v30, v43
	v_add_f16_e32 v60, v35, v68
	;; [unrolled: 1-line block ×3, first 2 shown]
	v_fma_f16 v33, v78, s15, -v37
	v_mul_f16_e32 v37, 0x3b47, v34
	v_mul_f16_e32 v43, 0x3b47, v79
	v_add_f16_e32 v32, v32, v65
	v_add_f16_e32 v65, v33, v66
	v_fma_f16 v33, v77, s5, -v37
	v_fma_f16 v38, v78, s5, v43
	v_fma_f16 v37, v77, s5, v37
	v_add_f16_e32 v62, v38, v72
	v_add_f16_e32 v38, v37, v71
	v_fma_f16 v37, v78, s5, -v43
	v_mul_f16_e32 v43, 0xbbeb, v79
	v_add_f16_e32 v66, v37, v70
	v_mul_f16_e32 v37, 0xbbeb, v34
	v_fma_f16 v44, v78, s14, v43
	v_fma_f16 v43, v78, s14, -v43
	v_fma_f16 v34, v77, s14, -v37
	v_add_f16_e32 v67, v43, v76
	v_pack_b32_f16 v43, v30, v58
	v_add_f16_e32 v33, v33, v69
	v_add_f16_e32 v34, v34, v73
	;; [unrolled: 1-line block ×3, first 2 shown]
	v_fma_f16 v37, v77, s14, v37
	ds_write_b32 v45, v43 offset:476
	v_pack_b32_f16 v43, v31, v59
	v_pack_b32_f16 v44, v32, v60
	v_add_u32_e32 v68, 0x200, v45
	v_add_f16_e32 v37, v37, v75
	ds_write2_b32 v68, v43, v44 offset0:110 offset1:229
	v_pack_b32_f16 v43, v33, v62
	v_pack_b32_f16 v44, v34, v64
	v_add_u32_e32 v69, 0x600, v45
	ds_write2_b32 v69, v43, v44 offset0:92 offset1:211
	v_pack_b32_f16 v43, v37, v67
	v_pack_b32_f16 v69, v38, v66
	v_add_u32_e32 v44, 0xa00, v45
	ds_write2_b32 v44, v43, v69 offset0:74 offset1:193
	v_pack_b32_f16 v69, v35, v65
	v_pack_b32_f16 v70, v36, v63
	v_add_u32_e32 v43, 0xe00, v45
	ds_write2_b32 v43, v69, v70 offset0:56 offset1:175
	v_pack_b32_f16 v69, v25, v61
	ds_write_b32 v45, v29
	ds_write_b32 v45, v69 offset:4760
	s_waitcnt lgkmcnt(0)
	s_barrier
	s_and_saveexec_b64 s[4:5], s[0:1]
	s_cbranch_execz .LBB0_13
; %bb.12:
	v_mov_b32_e32 v69, s7
	v_add_co_u32_e32 v73, vcc, s6, v45
	v_addc_co_u32_e32 v74, vcc, 0, v69, vcc
	v_add_co_u32_e32 v69, vcc, 0x1474, v73
	v_addc_co_u32_e32 v70, vcc, 0, v74, vcc
	;; [unrolled: 2-line block ×3, first 2 shown]
	global_load_dword v75, v[71:72], off offset:1140
	global_load_dword v79, v[69:70], off offset:308
	;; [unrolled: 1-line block ×11, first 2 shown]
	s_movk_i32 s14, 0x2000
	v_add_co_u32_e32 v71, vcc, s14, v73
	ds_read_b32 v76, v45
	v_addc_co_u32_e32 v72, vcc, 0, v74, vcc
	global_load_dword v89, v[69:70], off offset:3388
	global_load_dword v90, v[69:70], off offset:3696
	;; [unrolled: 1-line block ×6, first 2 shown]
	s_waitcnt lgkmcnt(0)
	v_lshrrev_b32_e32 v69, 16, v76
	s_waitcnt vmcnt(16)
	v_mul_f16_sdwa v70, v69, v75 dst_sel:DWORD dst_unused:UNUSED_PAD src0_sel:DWORD src1_sel:WORD_1
	v_mul_f16_sdwa v71, v76, v75 dst_sel:DWORD dst_unused:UNUSED_PAD src0_sel:DWORD src1_sel:WORD_1
	v_fma_f16 v70, v76, v75, -v70
	v_fma_f16 v69, v69, v75, v71
	v_pack_b32_f16 v69, v70, v69
	ds_write_b32 v45, v69
	ds_read2_b32 v[69:70], v45 offset0:77 offset1:154
	ds_read2_b32 v[71:72], v68 offset0:103 offset1:180
	ds_read2_b32 v[73:74], v42 offset0:129 offset1:206
	ds_read2_b32 v[75:76], v41 offset0:27 offset1:104
	ds_read2_b32 v[77:78], v44 offset0:53 offset1:130
	s_waitcnt lgkmcnt(4)
	v_lshrrev_b32_e32 v95, 16, v69
	s_waitcnt vmcnt(15)
	v_mul_f16_sdwa v96, v69, v79 dst_sel:DWORD dst_unused:UNUSED_PAD src0_sel:DWORD src1_sel:WORD_1
	v_lshrrev_b32_e32 v97, 16, v70
	s_waitcnt vmcnt(14)
	v_mul_f16_sdwa v98, v70, v80 dst_sel:DWORD dst_unused:UNUSED_PAD src0_sel:DWORD src1_sel:WORD_1
	s_waitcnt lgkmcnt(3)
	v_lshrrev_b32_e32 v99, 16, v71
	s_waitcnt vmcnt(13)
	v_mul_f16_sdwa v100, v71, v81 dst_sel:DWORD dst_unused:UNUSED_PAD src0_sel:DWORD src1_sel:WORD_1
	v_lshrrev_b32_e32 v101, 16, v72
	s_waitcnt vmcnt(12)
	v_mul_f16_sdwa v102, v72, v82 dst_sel:DWORD dst_unused:UNUSED_PAD src0_sel:DWORD src1_sel:WORD_1
	s_waitcnt lgkmcnt(2)
	v_lshrrev_b32_e32 v103, 16, v73
	s_waitcnt vmcnt(11)
	v_mul_f16_sdwa v104, v73, v83 dst_sel:DWORD dst_unused:UNUSED_PAD src0_sel:DWORD src1_sel:WORD_1
	v_lshrrev_b32_e32 v105, 16, v74
	v_mul_f16_sdwa v110, v95, v79 dst_sel:DWORD dst_unused:UNUSED_PAD src0_sel:DWORD src1_sel:WORD_1
	v_fma_f16 v95, v95, v79, v96
	v_mul_f16_sdwa v96, v97, v80 dst_sel:DWORD dst_unused:UNUSED_PAD src0_sel:DWORD src1_sel:WORD_1
	s_waitcnt vmcnt(10)
	v_mul_f16_sdwa v106, v74, v84 dst_sel:DWORD dst_unused:UNUSED_PAD src0_sel:DWORD src1_sel:WORD_1
	v_fma_f16 v97, v97, v80, v98
	v_mul_f16_sdwa v98, v99, v81 dst_sel:DWORD dst_unused:UNUSED_PAD src0_sel:DWORD src1_sel:WORD_1
	v_fma_f16 v99, v99, v81, v100
	v_mul_f16_sdwa v100, v101, v82 dst_sel:DWORD dst_unused:UNUSED_PAD src0_sel:DWORD src1_sel:WORD_1
	v_fma_f16 v101, v101, v82, v102
	v_mul_f16_sdwa v102, v103, v83 dst_sel:DWORD dst_unused:UNUSED_PAD src0_sel:DWORD src1_sel:WORD_1
	v_fma_f16 v103, v103, v83, v104
	v_mul_f16_sdwa v104, v105, v84 dst_sel:DWORD dst_unused:UNUSED_PAD src0_sel:DWORD src1_sel:WORD_1
	v_fma_f16 v69, v69, v79, -v110
	v_fma_f16 v70, v70, v80, -v96
	s_waitcnt lgkmcnt(1)
	v_lshrrev_b32_e32 v107, 16, v75
	s_waitcnt vmcnt(9)
	v_mul_f16_sdwa v108, v75, v85 dst_sel:DWORD dst_unused:UNUSED_PAD src0_sel:DWORD src1_sel:WORD_1
	v_lshrrev_b32_e32 v109, 16, v76
	v_fma_f16 v105, v105, v84, v106
	v_fma_f16 v71, v71, v81, -v98
	v_fma_f16 v72, v72, v82, -v100
	;; [unrolled: 1-line block ×4, first 2 shown]
	v_pack_b32_f16 v69, v69, v95
	v_pack_b32_f16 v70, v70, v97
	v_mul_f16_sdwa v106, v107, v85 dst_sel:DWORD dst_unused:UNUSED_PAD src0_sel:DWORD src1_sel:WORD_1
	v_fma_f16 v107, v107, v85, v108
	s_waitcnt vmcnt(8)
	v_mul_f16_sdwa v108, v109, v86 dst_sel:DWORD dst_unused:UNUSED_PAD src0_sel:DWORD src1_sel:WORD_1
	v_pack_b32_f16 v71, v71, v99
	v_pack_b32_f16 v72, v72, v101
	;; [unrolled: 1-line block ×4, first 2 shown]
	ds_write2_b32 v45, v69, v70 offset0:77 offset1:154
	ds_write2_b32 v68, v71, v72 offset0:103 offset1:180
	ds_write2_b32 v42, v73, v74 offset0:129 offset1:206
	v_mul_f16_sdwa v42, v76, v86 dst_sel:DWORD dst_unused:UNUSED_PAD src0_sel:DWORD src1_sel:WORD_1
	v_fma_f16 v75, v75, v85, -v106
	v_fma_f16 v79, v76, v86, -v108
	v_fma_f16 v42, v109, v86, v42
	v_pack_b32_f16 v75, v75, v107
	v_pack_b32_f16 v42, v79, v42
	ds_write2_b32 v41, v75, v42 offset0:27 offset1:104
	s_waitcnt lgkmcnt(4)
	v_lshrrev_b32_e32 v41, 16, v77
	s_waitcnt vmcnt(7)
	v_mul_f16_sdwa v42, v41, v87 dst_sel:DWORD dst_unused:UNUSED_PAD src0_sel:DWORD src1_sel:WORD_1
	v_mul_f16_sdwa v68, v77, v87 dst_sel:DWORD dst_unused:UNUSED_PAD src0_sel:DWORD src1_sel:WORD_1
	v_fma_f16 v42, v77, v87, -v42
	v_fma_f16 v41, v41, v87, v68
	v_lshrrev_b32_e32 v69, 16, v78
	v_pack_b32_f16 v68, v42, v41
	s_waitcnt vmcnt(6)
	v_mul_f16_sdwa v41, v69, v88 dst_sel:DWORD dst_unused:UNUSED_PAD src0_sel:DWORD src1_sel:WORD_1
	v_fma_f16 v70, v78, v88, -v41
	ds_read2_b32 v[41:42], v40 offset0:79 offset1:156
	v_mul_f16_sdwa v71, v78, v88 dst_sel:DWORD dst_unused:UNUSED_PAD src0_sel:DWORD src1_sel:WORD_1
	v_fma_f16 v69, v69, v88, v71
	v_pack_b32_f16 v69, v70, v69
	ds_write2_b32 v44, v68, v69 offset0:53 offset1:130
	s_waitcnt lgkmcnt(1)
	v_lshrrev_b32_e32 v44, 16, v41
	s_waitcnt vmcnt(5)
	v_mul_f16_sdwa v68, v44, v89 dst_sel:DWORD dst_unused:UNUSED_PAD src0_sel:DWORD src1_sel:WORD_1
	v_fma_f16 v68, v41, v89, -v68
	v_mul_f16_sdwa v41, v41, v89 dst_sel:DWORD dst_unused:UNUSED_PAD src0_sel:DWORD src1_sel:WORD_1
	v_fma_f16 v41, v44, v89, v41
	v_lshrrev_b32_e32 v44, 16, v42
	v_pack_b32_f16 v41, v68, v41
	s_waitcnt vmcnt(4)
	v_mul_f16_sdwa v68, v44, v90 dst_sel:DWORD dst_unused:UNUSED_PAD src0_sel:DWORD src1_sel:WORD_1
	v_fma_f16 v70, v42, v90, -v68
	ds_read2_b32 v[68:69], v43 offset0:105 offset1:182
	v_mul_f16_sdwa v42, v42, v90 dst_sel:DWORD dst_unused:UNUSED_PAD src0_sel:DWORD src1_sel:WORD_1
	v_fma_f16 v42, v44, v90, v42
	v_pack_b32_f16 v42, v70, v42
	ds_write2_b32 v40, v41, v42 offset0:79 offset1:156
	s_waitcnt lgkmcnt(1)
	v_lshrrev_b32_e32 v40, 16, v68
	s_waitcnt vmcnt(0)
	v_mul_f16_sdwa v41, v40, v94 dst_sel:DWORD dst_unused:UNUSED_PAD src0_sel:DWORD src1_sel:WORD_1
	v_mul_f16_sdwa v42, v68, v94 dst_sel:DWORD dst_unused:UNUSED_PAD src0_sel:DWORD src1_sel:WORD_1
	v_fma_f16 v41, v68, v94, -v41
	v_fma_f16 v40, v40, v94, v42
	v_lshrrev_b32_e32 v44, 16, v69
	v_pack_b32_f16 v42, v41, v40
	v_mul_f16_sdwa v40, v44, v92 dst_sel:DWORD dst_unused:UNUSED_PAD src0_sel:DWORD src1_sel:WORD_1
	v_fma_f16 v68, v69, v92, -v40
	ds_read2_b32 v[40:41], v39 offset0:131 offset1:208
	v_mul_f16_sdwa v69, v69, v92 dst_sel:DWORD dst_unused:UNUSED_PAD src0_sel:DWORD src1_sel:WORD_1
	v_fma_f16 v44, v44, v92, v69
	v_pack_b32_f16 v44, v68, v44
	ds_write2_b32 v43, v42, v44 offset0:105 offset1:182
	s_waitcnt lgkmcnt(1)
	v_lshrrev_b32_e32 v42, 16, v40
	v_mul_f16_sdwa v43, v42, v93 dst_sel:DWORD dst_unused:UNUSED_PAD src0_sel:DWORD src1_sel:WORD_1
	v_fma_f16 v43, v40, v93, -v43
	v_mul_f16_sdwa v40, v40, v93 dst_sel:DWORD dst_unused:UNUSED_PAD src0_sel:DWORD src1_sel:WORD_1
	v_fma_f16 v40, v42, v93, v40
	v_lshrrev_b32_e32 v42, 16, v41
	v_pack_b32_f16 v40, v43, v40
	v_mul_f16_sdwa v43, v42, v91 dst_sel:DWORD dst_unused:UNUSED_PAD src0_sel:DWORD src1_sel:WORD_1
	v_fma_f16 v43, v41, v91, -v43
	v_mul_f16_sdwa v41, v41, v91 dst_sel:DWORD dst_unused:UNUSED_PAD src0_sel:DWORD src1_sel:WORD_1
	v_fma_f16 v41, v42, v91, v41
	v_pack_b32_f16 v41, v43, v41
	ds_write2_b32 v39, v40, v41 offset0:131 offset1:208
.LBB0_13:
	s_or_b64 exec, exec, s[4:5]
	s_waitcnt lgkmcnt(0)
	s_barrier
	s_and_saveexec_b64 s[4:5], s[0:1]
	s_cbranch_execz .LBB0_15
; %bb.14:
	v_add_u32_e32 v17, 0x400, v45
	ds_read2_b32 v[29:30], v45 offset1:77
	ds_read2_b32 v[31:32], v45 offset0:154 offset1:231
	ds_read2_b32 v[33:34], v17 offset0:52 offset1:129
	v_add_u32_e32 v17, 0x600, v45
	ds_read2_b32 v[37:38], v17 offset0:78 offset1:155
	v_add_u32_e32 v17, 0x800, v45
	;; [unrolled: 2-line block ×3, first 2 shown]
	ds_read2_b32 v[25:26], v17 offset0:2 offset1:79
	ds_read2_b32 v[27:28], v17 offset0:156 offset1:233
	v_add_u32_e32 v17, 0x1000, v45
	ds_read2_b32 v[17:18], v17 offset0:54 offset1:131
	ds_read_b32 v48, v45 offset:4928
	s_waitcnt lgkmcnt(8)
	v_lshrrev_b32_e32 v58, 16, v30
	s_waitcnt lgkmcnt(7)
	v_lshrrev_b32_e32 v59, 16, v31
	v_lshrrev_b32_e32 v60, 16, v32
	s_waitcnt lgkmcnt(6)
	v_lshrrev_b32_e32 v62, 16, v33
	;; [unrolled: 3-line block ×8, first 2 shown]
.LBB0_15:
	s_or_b64 exec, exec, s[4:5]
	v_sub_f16_e32 v81, v58, v49
	v_add_f16_e32 v69, v48, v30
	v_add_f16_e32 v83, v49, v58
	s_movk_i32 s14, 0x2de8
	v_mul_f16_e32 v94, 0xbbf7, v81
	v_sub_f16_e32 v85, v59, v50
	v_sub_f16_e32 v72, v30, v48
	s_mov_b32 s17, 0xbbf7
	v_mul_f16_e32 v96, 0x2de8, v83
	v_fma_f16 v39, v69, s14, -v94
	s_mov_b32 s21, 0xbbdd
	v_add_f16_e32 v78, v18, v31
	v_add_f16_e32 v87, v50, v59
	v_mul_f16_e32 v102, 0xb1e1, v85
	v_add_f16_e32 v39, v39, v29
	v_fma_f16 v40, v72, s17, v96
	s_mov_b32 s15, 0xb461
	v_mul_f16_e32 v100, 0xbbb2, v81
	s_mov_b32 s23, 0xb1e1
	v_sub_f16_e32 v79, v31, v18
	v_mul_f16_e32 v106, 0xbbdd, v87
	v_fma_f16 v80, v78, s21, -v102
	v_add_f16_sdwa v40, v40, v29 dst_sel:DWORD dst_unused:UNUSED_PAD src0_sel:DWORD src1_sel:WORD_1
	s_mov_b32 s19, 0xbbb2
	v_mul_f16_e32 v103, 0xb461, v83
	v_fma_f16 v41, v69, s15, -v100
	s_mov_b32 s18, 0xbacd
	v_add_f16_e32 v39, v80, v39
	v_fma_f16 v80, v79, s23, v106
	v_mul_f16_e32 v110, 0x3836, v85
	v_add_f16_e32 v41, v41, v29
	v_fma_f16 v42, v72, s19, v103
	s_mov_b32 s16, 0xb8d2
	v_mul_f16_e32 v108, 0xba62, v81
	s_movk_i32 s24, 0x3836
	v_add_f16_e32 v40, v80, v40
	v_mul_f16_e32 v114, 0xbacd, v87
	v_fma_f16 v80, v78, s18, -v110
	v_add_f16_sdwa v42, v42, v29 dst_sel:DWORD dst_unused:UNUSED_PAD src0_sel:DWORD src1_sel:WORD_1
	s_mov_b32 s20, 0xba62
	v_mul_f16_e32 v111, 0xb8d2, v83
	v_fma_f16 v43, v69, s16, -v108
	v_add_f16_e32 v41, v80, v41
	v_fma_f16 v80, v79, s24, v114
	v_mul_f16_e32 v117, 0x3bb2, v85
	v_add_f16_e32 v43, v43, v29
	v_fma_f16 v44, v72, s20, v111
	v_add_f16_e32 v42, v80, v42
	s_movk_i32 s28, 0x3bb2
	v_mul_f16_e32 v121, 0xb461, v87
	v_fma_f16 v80, v78, s15, -v117
	v_add_f16_sdwa v44, v44, v29 dst_sel:DWORD dst_unused:UNUSED_PAD src0_sel:DWORD src1_sel:WORD_1
	v_mul_f16_e32 v68, 0xb836, v81
	v_add_f16_e32 v43, v80, v43
	v_fma_f16 v80, v79, s28, v121
	v_fma_f16 v70, v69, s18, v68
	v_add_f16_e32 v44, v80, v44
	v_mul_f16_e32 v80, 0x3b29, v85
	s_movk_i32 s25, 0x3722
	s_mov_b32 s22, 0xb836
	v_add_f16_e32 v70, v70, v29
	v_mul_f16_e32 v71, 0xbacd, v83
	v_fma_f16 v68, v69, s18, -v68
	v_fma_f16 v82, v78, s25, v80
	v_fma_f16 v73, v72, s24, v71
	v_add_f16_e32 v68, v68, v29
	v_fma_f16 v71, v72, s22, v71
	s_movk_i32 s31, 0x3b29
	v_add_f16_e32 v70, v82, v70
	v_mul_f16_e32 v82, 0x3722, v87
	v_fma_f16 v80, v78, s25, -v80
	v_add_f16_sdwa v71, v71, v29 dst_sel:DWORD dst_unused:UNUSED_PAD src0_sel:DWORD src1_sel:WORD_1
	v_mul_f16_e32 v74, 0xb1e1, v81
	v_add_f16_e32 v68, v80, v68
	v_fma_f16 v80, v79, s31, v82
	v_fma_f16 v75, v69, s21, v74
	s_mov_b32 s27, 0xbb29
	v_add_f16_e32 v71, v80, v71
	v_mul_f16_e32 v80, 0x35c8, v85
	s_movk_i32 s26, 0x3b76
	v_add_f16_e32 v75, v75, v29
	v_mul_f16_e32 v76, 0xbbdd, v83
	s_movk_i32 s33, 0x31e1
	v_fma_f16 v74, v69, s21, -v74
	v_fma_f16 v84, v79, s27, v82
	v_fma_f16 v82, v78, s26, v80
	;; [unrolled: 1-line block ×3, first 2 shown]
	v_add_f16_e32 v74, v74, v29
	v_fma_f16 v76, v72, s23, v76
	s_movk_i32 s34, 0x35c8
	v_add_f16_e32 v75, v82, v75
	v_mul_f16_e32 v82, 0x3b76, v87
	v_fma_f16 v80, v78, s26, -v80
	v_add_f16_sdwa v73, v73, v29 dst_sel:DWORD dst_unused:UNUSED_PAD src0_sel:DWORD src1_sel:WORD_1
	v_add_f16_sdwa v76, v76, v29 dst_sel:DWORD dst_unused:UNUSED_PAD src0_sel:DWORD src1_sel:WORD_1
	s_mov_b32 s30, 0xb5c8
	v_add_f16_e32 v74, v80, v74
	v_fma_f16 v80, v79, s34, v82
	v_sub_f16_e32 v90, v60, v51
	v_add_f16_sdwa v77, v77, v29 dst_sel:DWORD dst_unused:UNUSED_PAD src0_sel:DWORD src1_sel:WORD_1
	v_add_f16_e32 v73, v84, v73
	v_fma_f16 v84, v79, s30, v82
	v_add_f16_e32 v76, v80, v76
	v_add_f16_e32 v80, v17, v32
	;; [unrolled: 1-line block ×3, first 2 shown]
	v_mul_f16_e32 v112, 0x3bb2, v90
	v_add_f16_e32 v77, v84, v77
	v_sub_f16_e32 v82, v32, v17
	v_mul_f16_e32 v115, 0xb461, v92
	v_fma_f16 v84, v80, s15, -v112
	v_add_f16_e32 v39, v84, v39
	v_fma_f16 v84, v82, s28, v115
	s_movk_i32 s29, 0x39e9
	v_mul_f16_e32 v118, 0x3964, v90
	v_add_f16_e32 v40, v84, v40
	s_movk_i32 s35, 0x3964
	v_mul_f16_e32 v122, 0x39e9, v92
	v_fma_f16 v84, v80, s29, -v118
	v_add_f16_e32 v41, v84, v41
	v_fma_f16 v84, v82, s35, v122
	v_mul_f16_e32 v125, 0xb5c8, v90
	v_add_f16_e32 v42, v84, v42
	v_mul_f16_e32 v129, 0x3b76, v92
	v_fma_f16 v84, v80, s26, -v125
	v_add_f16_e32 v43, v84, v43
	v_fma_f16 v84, v82, s30, v129
	v_add_f16_e32 v44, v84, v44
	v_mul_f16_e32 v84, 0xbbf7, v90
	v_fma_f16 v86, v80, s14, v84
	v_add_f16_e32 v70, v86, v70
	v_mul_f16_e32 v86, 0x2de8, v92
	v_fma_f16 v84, v80, s14, -v84
	v_add_f16_e32 v68, v84, v68
	v_fma_f16 v84, v82, s17, v86
	s_movk_i32 s37, 0x3bf7
	v_add_f16_e32 v71, v84, v71
	v_mul_f16_e32 v84, 0xb836, v90
	v_fma_f16 v88, v82, s37, v86
	v_fma_f16 v86, v80, s18, v84
	v_add_f16_e32 v75, v86, v75
	v_mul_f16_e32 v86, 0xbacd, v92
	v_fma_f16 v84, v80, s18, -v84
	v_add_f16_e32 v74, v84, v74
	v_fma_f16 v84, v82, s22, v86
	v_sub_f16_e32 v95, v62, v57
	v_add_f16_e32 v73, v88, v73
	v_fma_f16 v88, v82, s24, v86
	v_add_f16_e32 v76, v84, v76
	v_add_f16_e32 v84, v28, v33
	;; [unrolled: 1-line block ×3, first 2 shown]
	v_mul_f16_e32 v119, 0x35c8, v95
	v_add_f16_e32 v77, v88, v77
	v_sub_f16_e32 v86, v33, v28
	v_mul_f16_e32 v123, 0x3b76, v98
	v_fma_f16 v88, v84, s26, -v119
	v_add_f16_e32 v39, v88, v39
	v_fma_f16 v88, v86, s34, v123
	v_mul_f16_e32 v126, 0xbb29, v95
	v_add_f16_e32 v40, v88, v40
	v_mul_f16_e32 v130, 0x3722, v98
	v_fma_f16 v88, v84, s25, -v126
	v_add_f16_e32 v41, v88, v41
	v_fma_f16 v88, v86, s27, v130
	v_mul_f16_e32 v132, 0xb836, v95
	v_add_f16_e32 v42, v88, v42
	v_mul_f16_e32 v135, 0xbacd, v98
	v_fma_f16 v88, v84, s18, -v132
	v_add_f16_e32 v43, v88, v43
	v_fma_f16 v88, v86, s22, v135
	v_add_f16_e32 v44, v88, v44
	v_mul_f16_e32 v88, 0x3a62, v95
	v_fma_f16 v89, v84, s16, v88
	s_movk_i32 s38, 0x3a62
	v_add_f16_e32 v70, v89, v70
	v_mul_f16_e32 v89, 0xb8d2, v98
	v_fma_f16 v88, v84, s16, -v88
	v_add_f16_e32 v68, v88, v68
	v_fma_f16 v88, v86, s38, v89
	v_add_f16_e32 v71, v88, v71
	v_mul_f16_e32 v88, 0x3964, v95
	v_fma_f16 v91, v86, s20, v89
	v_fma_f16 v89, v84, s29, v88
	v_add_f16_e32 v75, v89, v75
	v_mul_f16_e32 v89, 0x39e9, v98
	v_fma_f16 v88, v84, s29, -v88
	s_mov_b32 s36, 0xb964
	v_add_f16_e32 v74, v88, v74
	v_fma_f16 v88, v86, s35, v89
	v_sub_f16_e32 v101, v64, v56
	v_add_f16_e32 v73, v91, v73
	v_fma_f16 v91, v86, s36, v89
	v_add_f16_e32 v76, v88, v76
	v_add_f16_e32 v88, v27, v34
	;; [unrolled: 1-line block ×3, first 2 shown]
	v_mul_f16_e32 v128, 0xbb29, v101
	v_add_f16_e32 v77, v91, v77
	v_sub_f16_e32 v89, v34, v27
	v_mul_f16_e32 v131, 0x3722, v105
	v_fma_f16 v91, v88, s25, -v128
	v_add_f16_e32 v39, v91, v39
	v_fma_f16 v91, v89, s27, v131
	v_mul_f16_e32 v133, 0xb1e1, v101
	v_add_f16_e32 v40, v91, v40
	v_mul_f16_e32 v136, 0xbbdd, v105
	v_fma_f16 v91, v88, s21, -v133
	v_add_f16_e32 v41, v91, v41
	v_fma_f16 v91, v89, s23, v136
	v_mul_f16_e32 v138, 0x3bf7, v101
	v_add_f16_e32 v42, v91, v42
	v_mul_f16_e32 v141, 0x2de8, v105
	v_fma_f16 v91, v88, s14, -v138
	v_add_f16_e32 v43, v91, v43
	v_fma_f16 v91, v89, s37, v141
	v_add_f16_e32 v44, v91, v44
	v_mul_f16_e32 v91, 0xb5c8, v101
	v_fma_f16 v93, v88, s26, v91
	v_add_f16_e32 v70, v93, v70
	v_mul_f16_e32 v93, 0x3b76, v105
	v_fma_f16 v91, v88, s26, -v91
	v_add_f16_e32 v68, v91, v68
	v_fma_f16 v91, v89, s30, v93
	v_add_f16_e32 v71, v91, v71
	v_mul_f16_e32 v91, 0xba62, v101
	v_fma_f16 v97, v89, s34, v93
	v_fma_f16 v93, v88, s16, v91
	v_add_f16_e32 v75, v93, v75
	v_mul_f16_e32 v93, 0xb8d2, v105
	v_fma_f16 v91, v88, s16, -v91
	v_add_f16_e32 v74, v91, v74
	v_fma_f16 v91, v89, s20, v93
	v_sub_f16_e32 v109, v67, v55
	v_add_f16_e32 v73, v97, v73
	v_fma_f16 v97, v89, s38, v93
	v_add_f16_e32 v76, v91, v76
	v_add_f16_e32 v91, v26, v37
	;; [unrolled: 1-line block ×3, first 2 shown]
	v_mul_f16_e32 v134, 0xb836, v109
	v_add_f16_e32 v77, v97, v77
	v_sub_f16_e32 v93, v37, v26
	v_mul_f16_e32 v137, 0xbacd, v113
	v_fma_f16 v97, v91, s18, -v134
	v_add_f16_e32 v39, v97, v39
	v_fma_f16 v97, v93, s22, v137
	v_mul_f16_e32 v139, 0x3bf7, v109
	v_add_f16_e32 v40, v97, v40
	v_mul_f16_e32 v142, 0x2de8, v113
	v_fma_f16 v97, v91, s14, -v139
	v_add_f16_e32 v41, v97, v41
	v_fma_f16 v97, v93, s37, v142
	v_mul_f16_e32 v144, 0xb964, v109
	v_add_f16_e32 v42, v97, v42
	v_mul_f16_e32 v147, 0x39e9, v113
	v_fma_f16 v97, v91, s29, -v144
	v_add_f16_e32 v43, v97, v43
	v_fma_f16 v97, v93, s36, v147
	v_add_f16_e32 v44, v97, v44
	v_mul_f16_e32 v97, 0xb1e1, v109
	v_fma_f16 v99, v91, s21, v97
	v_add_f16_e32 v70, v99, v70
	v_mul_f16_e32 v99, 0xbbdd, v113
	v_fma_f16 v97, v91, s21, -v97
	v_add_f16_e32 v68, v97, v68
	v_fma_f16 v97, v93, s23, v99
	v_add_f16_e32 v71, v97, v71
	v_mul_f16_e32 v97, 0x3b29, v109
	v_fma_f16 v104, v93, s33, v99
	v_fma_f16 v99, v91, s25, v97
	v_add_f16_e32 v75, v99, v75
	v_mul_f16_e32 v99, 0x3722, v113
	v_fma_f16 v97, v91, s25, -v97
	v_add_f16_e32 v74, v97, v74
	v_fma_f16 v97, v93, s31, v99
	v_sub_f16_e32 v116, v66, v61
	v_add_f16_e32 v73, v104, v73
	v_fma_f16 v104, v93, s27, v99
	v_add_f16_e32 v76, v97, v76
	v_add_f16_e32 v97, v25, v38
	;; [unrolled: 1-line block ×3, first 2 shown]
	v_mul_f16_e32 v140, 0x3a62, v116
	v_add_f16_e32 v77, v104, v77
	v_sub_f16_e32 v99, v38, v25
	v_mul_f16_e32 v143, 0xb8d2, v120
	v_fma_f16 v104, v97, s16, -v140
	v_add_f16_e32 v39, v104, v39
	v_fma_f16 v104, v99, s38, v143
	v_mul_f16_e32 v145, 0xb5c8, v116
	v_add_f16_e32 v151, v104, v40
	v_mul_f16_e32 v148, 0x3b76, v120
	v_fma_f16 v40, v97, s26, -v145
	v_add_f16_e32 v41, v40, v41
	v_fma_f16 v40, v99, s30, v148
	v_mul_f16_e32 v150, 0xb1e1, v116
	v_add_f16_e32 v42, v40, v42
	v_mul_f16_e32 v152, 0xbbdd, v120
	v_fma_f16 v40, v97, s21, -v150
	v_add_f16_e32 v43, v40, v43
	v_fma_f16 v40, v99, s23, v152
	v_add_f16_e32 v44, v40, v44
	v_mul_f16_e32 v40, 0x3964, v116
	v_fma_f16 v104, v97, s29, v40
	v_add_f16_e32 v70, v104, v70
	v_mul_f16_e32 v104, 0x39e9, v120
	v_fma_f16 v40, v97, s29, -v40
	v_add_f16_e32 v157, v40, v68
	v_fma_f16 v40, v99, s35, v104
	v_add_f16_e32 v158, v40, v71
	v_mul_f16_e32 v40, 0xbbb2, v116
	v_fma_f16 v68, v97, s15, v40
	v_add_f16_e32 v159, v68, v75
	v_mul_f16_e32 v68, 0xb461, v120
	v_fma_f16 v40, v97, s15, -v40
	v_sub_f16_e32 v124, v65, v63
	v_fma_f16 v107, v99, s36, v104
	v_add_f16_e32 v160, v40, v74
	v_fma_f16 v40, v99, s19, v68
	v_add_f16_e32 v104, v36, v35
	v_add_f16_e32 v127, v63, v65
	v_mul_f16_e32 v146, 0x3964, v124
	v_add_f16_e32 v156, v107, v73
	v_add_f16_e32 v76, v40, v76
	v_sub_f16_e32 v107, v35, v36
	v_mul_f16_e32 v149, 0x39e9, v127
	v_fma_f16 v40, v104, s29, -v146
	v_add_f16_e32 v40, v40, v39
	v_fma_f16 v39, v107, s35, v149
	v_add_f16_e32 v73, v39, v151
	v_mul_f16_e32 v151, 0xba62, v124
	v_mul_f16_e32 v153, 0xb8d2, v127
	v_fma_f16 v39, v104, s16, -v151
	v_fma_f16 v71, v99, s28, v68
	v_add_f16_e32 v39, v39, v41
	v_fma_f16 v41, v107, s20, v153
	v_mul_f16_e32 v154, 0x3b29, v124
	v_add_f16_e32 v77, v71, v77
	v_add_f16_e32 v71, v41, v42
	v_mul_f16_e32 v155, 0x3722, v127
	v_fma_f16 v41, v104, s25, -v154
	v_add_f16_e32 v42, v41, v43
	v_fma_f16 v41, v107, s31, v155
	v_add_f16_e32 v74, v41, v44
	v_mul_f16_e32 v41, 0xbbb2, v124
	v_fma_f16 v43, v104, s15, v41
	v_add_f16_e32 v68, v43, v70
	v_mul_f16_e32 v43, 0xb461, v127
	v_fma_f16 v44, v107, s28, v43
	v_add_f16_e32 v70, v44, v156
	v_fma_f16 v41, v104, s15, -v41
	v_fma_f16 v43, v107, s19, v43
	v_mul_f16_e32 v44, 0x3bf7, v124
	v_mul_f16_e32 v156, 0x2de8, v127
	v_add_f16_e32 v41, v41, v157
	v_add_f16_e32 v75, v43, v158
	v_fma_f16 v43, v104, s14, v44
	v_fma_f16 v157, v107, s17, v156
	v_fma_f16 v44, v104, s14, -v44
	v_fma_f16 v156, v107, s37, v156
	v_add_f16_e32 v43, v43, v159
	v_add_f16_e32 v77, v157, v77
	v_add_f16_e32 v44, v44, v160
	v_add_f16_e32 v76, v156, v76
	s_barrier
	s_and_saveexec_b64 s[4:5], s[0:1]
	s_cbranch_execz .LBB0_17
; %bb.16:
	v_mul_f16_e32 v156, 0x2de8, v69
	v_mul_f16_e32 v157, 0xbbf7, v72
	;; [unrolled: 1-line block ×4, first 2 shown]
	v_add_f16_e32 v94, v156, v94
	v_mul_f16_e32 v163, 0xb1e1, v79
	v_mul_f16_e32 v164, 0xbacd, v78
	;; [unrolled: 1-line block ×3, first 2 shown]
	v_add_f16_e32 v100, v158, v100
	v_sub_f16_e32 v96, v96, v157
	v_add_f16_e32 v94, v94, v29
	v_add_f16_e32 v102, v162, v102
	v_mul_f16_e32 v169, 0x3bb2, v82
	v_mul_f16_e32 v170, 0x39e9, v80
	;; [unrolled: 1-line block ×3, first 2 shown]
	v_add_f16_e32 v100, v100, v29
	v_add_f16_e32 v110, v164, v110
	v_add_f16_sdwa v96, v96, v29 dst_sel:DWORD dst_unused:UNUSED_PAD src0_sel:DWORD src1_sel:WORD_1
	v_sub_f16_e32 v106, v106, v163
	v_add_f16_e32 v94, v102, v94
	v_add_f16_e32 v102, v168, v112
	v_mul_f16_e32 v159, 0xbbb2, v72
	v_mul_f16_e32 v175, 0x35c8, v86
	;; [unrolled: 1-line block ×4, first 2 shown]
	v_add_f16_e32 v100, v110, v100
	v_add_f16_e32 v110, v170, v118
	;; [unrolled: 1-line block ×3, first 2 shown]
	v_sub_f16_e32 v106, v115, v169
	v_add_f16_e32 v94, v102, v94
	v_add_f16_e32 v102, v174, v119
	v_mul_f16_e32 v165, 0x3836, v79
	v_mul_f16_e32 v181, 0xbb29, v89
	;; [unrolled: 1-line block ×4, first 2 shown]
	v_sub_f16_e32 v103, v103, v159
	v_add_f16_e32 v100, v110, v100
	v_add_f16_e32 v110, v176, v126
	v_add_f16_e32 v96, v106, v96
	v_sub_f16_e32 v106, v123, v175
	v_add_f16_e32 v94, v102, v94
	v_add_f16_e32 v102, v180, v128
	v_mul_f16_e32 v171, 0x3964, v82
	v_mul_f16_e32 v187, 0xb836, v93
	;; [unrolled: 1-line block ×4, first 2 shown]
	v_add_f16_sdwa v103, v103, v29 dst_sel:DWORD dst_unused:UNUSED_PAD src0_sel:DWORD src1_sel:WORD_1
	v_sub_f16_e32 v114, v114, v165
	v_add_f16_e32 v100, v110, v100
	v_add_f16_e32 v110, v182, v133
	;; [unrolled: 1-line block ×3, first 2 shown]
	v_sub_f16_e32 v106, v131, v181
	v_add_f16_e32 v94, v102, v94
	v_add_f16_e32 v102, v186, v134
	v_mul_f16_e32 v177, 0xbb29, v86
	v_mul_f16_e32 v193, 0x3a62, v99
	;; [unrolled: 1-line block ×4, first 2 shown]
	v_add_f16_e32 v103, v114, v103
	v_sub_f16_e32 v114, v122, v171
	v_add_f16_e32 v100, v110, v100
	v_add_f16_e32 v110, v188, v139
	v_add_f16_e32 v96, v106, v96
	v_sub_f16_e32 v106, v137, v187
	v_add_f16_e32 v94, v102, v94
	v_add_f16_e32 v102, v192, v140
	v_mul_f16_e32 v160, 0xb8d2, v69
	v_mul_f16_e32 v183, 0xb1e1, v89
	;; [unrolled: 1-line block ×4, first 2 shown]
	v_add_f16_e32 v103, v114, v103
	v_sub_f16_e32 v114, v130, v177
	v_add_f16_e32 v100, v110, v100
	v_add_f16_e32 v110, v194, v145
	v_add_f16_e32 v96, v106, v96
	v_sub_f16_e32 v106, v143, v193
	v_add_f16_e32 v94, v102, v94
	v_add_f16_e32 v102, v198, v146
	v_mul_f16_e32 v166, 0xb461, v78
	v_mul_f16_e32 v189, 0x3bf7, v93
	v_add_f16_e32 v108, v160, v108
	v_add_f16_e32 v103, v114, v103
	v_sub_f16_e32 v114, v136, v183
	v_add_f16_e32 v100, v110, v100
	v_add_f16_e32 v110, v200, v151
	;; [unrolled: 1-line block ×3, first 2 shown]
	v_sub_f16_e32 v106, v149, v199
	v_add_f16_e32 v94, v102, v94
	v_mul_f16_e32 v102, 0x3722, v83
	v_mul_f16_e32 v172, 0x3b76, v80
	;; [unrolled: 1-line block ×3, first 2 shown]
	v_add_f16_e32 v108, v108, v29
	v_add_f16_e32 v117, v166, v117
	;; [unrolled: 1-line block ×3, first 2 shown]
	v_sub_f16_e32 v114, v142, v189
	v_add_f16_e32 v100, v110, v100
	v_add_f16_e32 v96, v106, v96
	v_fma_f16 v106, v72, s31, v102
	v_mul_f16_e32 v110, 0xb8d2, v87
	v_mul_f16_e32 v178, 0xbacd, v84
	;; [unrolled: 1-line block ×3, first 2 shown]
	v_add_f16_e32 v108, v117, v108
	v_add_f16_e32 v117, v172, v125
	;; [unrolled: 1-line block ×3, first 2 shown]
	v_sub_f16_e32 v114, v148, v195
	v_add_f16_sdwa v106, v106, v29 dst_sel:DWORD dst_unused:UNUSED_PAD src0_sel:DWORD src1_sel:WORD_1
	v_fma_f16 v112, v79, s38, v110
	v_mul_f16_e32 v184, 0x2de8, v88
	v_add_f16_e32 v108, v117, v108
	v_add_f16_e32 v117, v178, v132
	;; [unrolled: 1-line block ×3, first 2 shown]
	v_sub_f16_e32 v114, v153, v201
	v_add_f16_e32 v106, v112, v106
	v_mul_f16_e32 v112, 0xbbdd, v92
	v_mul_f16_e32 v190, 0x39e9, v91
	v_add_f16_e32 v108, v117, v108
	v_add_f16_e32 v117, v184, v138
	;; [unrolled: 1-line block ×3, first 2 shown]
	v_fma_f16 v114, v82, s23, v112
	v_mul_f16_e32 v161, 0xba62, v72
	v_mul_f16_e32 v196, 0xbbdd, v97
	v_add_f16_e32 v108, v117, v108
	v_add_f16_e32 v117, v190, v144
	v_add_f16_e32 v106, v114, v106
	v_mul_f16_e32 v114, 0xb461, v98
	v_mul_f16_e32 v167, 0x3bb2, v79
	;; [unrolled: 1-line block ×3, first 2 shown]
	v_sub_f16_e32 v111, v111, v161
	v_add_f16_e32 v108, v117, v108
	v_add_f16_e32 v117, v196, v150
	v_fma_f16 v115, v86, s19, v114
	v_mul_f16_e32 v173, 0xb5c8, v82
	v_add_f16_sdwa v111, v111, v29 dst_sel:DWORD dst_unused:UNUSED_PAD src0_sel:DWORD src1_sel:WORD_1
	v_sub_f16_e32 v121, v121, v167
	v_add_f16_e32 v108, v117, v108
	v_add_f16_e32 v117, v202, v154
	;; [unrolled: 1-line block ×3, first 2 shown]
	v_mul_f16_e32 v115, 0x39e9, v105
	v_mul_f16_e32 v179, 0xb836, v86
	v_add_f16_e32 v111, v121, v111
	v_sub_f16_e32 v121, v129, v173
	v_add_f16_e32 v108, v117, v108
	v_fma_f16 v117, v89, s36, v115
	v_mul_f16_e32 v185, 0x3bf7, v89
	v_add_f16_e32 v111, v121, v111
	v_sub_f16_e32 v121, v135, v179
	v_add_f16_e32 v106, v117, v106
	v_mul_f16_e32 v117, 0x3b76, v113
	v_mul_f16_e32 v191, 0xb964, v93
	v_add_f16_e32 v111, v121, v111
	v_sub_f16_e32 v121, v141, v185
	v_fma_f16 v118, v93, s34, v117
	v_mul_f16_e32 v197, 0xb1e1, v99
	v_add_f16_e32 v111, v121, v111
	v_sub_f16_e32 v121, v147, v191
	v_add_f16_e32 v106, v118, v106
	v_mul_f16_e32 v118, 0x2de8, v120
	v_mul_f16_e32 v203, 0x3b29, v107
	v_add_f16_e32 v111, v121, v111
	v_sub_f16_e32 v121, v152, v197
	v_fma_f16 v119, v99, s37, v118
	v_add_f16_e32 v111, v121, v111
	v_sub_f16_e32 v121, v155, v203
	v_add_f16_e32 v106, v119, v106
	v_mul_f16_e32 v119, 0xbacd, v127
	v_add_f16_e32 v111, v121, v111
	v_fma_f16 v121, v107, s24, v119
	v_add_f16_e32 v106, v121, v106
	v_mul_f16_e32 v121, 0xbb29, v81
	v_fma_f16 v122, v69, s25, v121
	v_mul_f16_e32 v123, 0xba62, v85
	v_add_f16_e32 v122, v122, v29
	v_fma_f16 v125, v78, s16, v123
	v_add_f16_e32 v122, v125, v122
	v_mul_f16_e32 v125, 0x31e1, v90
	v_fma_f16 v126, v80, s21, v125
	v_add_f16_e32 v122, v126, v122
	v_mul_f16_e32 v126, 0x3bb2, v95
	;; [unrolled: 3-line block ×7, first 2 shown]
	v_fma_f16 v133, v72, s35, v132
	v_mul_f16_e32 v134, 0x2de8, v87
	v_add_f16_sdwa v133, v133, v29 dst_sel:DWORD dst_unused:UNUSED_PAD src0_sel:DWORD src1_sel:WORD_1
	v_fma_f16 v135, v79, s37, v134
	v_add_f16_e32 v133, v135, v133
	v_mul_f16_e32 v135, 0xb8d2, v92
	v_fma_f16 v136, v82, s38, v135
	v_add_f16_e32 v133, v136, v133
	v_mul_f16_e32 v136, 0xbbdd, v98
	;; [unrolled: 3-line block ×6, first 2 shown]
	v_fma_f16 v141, v107, s30, v140
	v_fma_f16 v102, v72, s27, v102
	v_add_f16_e32 v133, v141, v133
	v_mul_f16_e32 v141, 0xb964, v81
	v_add_f16_sdwa v102, v102, v29 dst_sel:DWORD dst_unused:UNUSED_PAD src0_sel:DWORD src1_sel:WORD_1
	v_fma_f16 v110, v79, s20, v110
	v_fma_f16 v142, v69, s29, v141
	v_mul_f16_e32 v143, 0xbbf7, v85
	v_add_f16_e32 v102, v110, v102
	v_fma_f16 v110, v82, s33, v112
	v_add_f16_e32 v142, v142, v29
	v_fma_f16 v144, v78, s14, v143
	;; [unrolled: 2-line block ×3, first 2 shown]
	v_add_f16_e32 v142, v144, v142
	v_mul_f16_e32 v144, 0xba62, v90
	v_add_f16_e32 v102, v110, v102
	v_fma_f16 v110, v89, s35, v115
	v_fma_f16 v145, v80, s16, v144
	v_add_f16_e32 v102, v110, v102
	v_fma_f16 v110, v93, s30, v117
	v_add_f16_e32 v142, v145, v142
	v_mul_f16_e32 v145, 0xb1e1, v95
	v_add_f16_e32 v102, v110, v102
	v_fma_f16 v110, v99, s17, v118
	v_fma_f16 v146, v84, s21, v145
	v_add_f16_e32 v102, v110, v102
	v_fma_f16 v110, v107, s22, v119
	v_add_f16_e32 v142, v146, v142
	v_mul_f16_e32 v146, 0x3836, v101
	v_add_f16_e32 v102, v110, v102
	v_fma_f16 v110, v69, s25, -v121
	v_fma_f16 v147, v88, s18, v146
	v_add_f16_e32 v110, v110, v29
	v_fma_f16 v112, v78, s16, -v123
	v_add_f16_e32 v142, v147, v142
	v_mul_f16_e32 v147, 0x3bb2, v109
	v_add_f16_e32 v110, v112, v110
	v_fma_f16 v112, v80, s21, -v125
	v_fma_f16 v148, v91, s15, v147
	v_add_f16_e32 v110, v112, v110
	v_fma_f16 v112, v84, s15, -v126
	;; [unrolled: 7-line block ×3, first 2 shown]
	v_add_f16_e32 v142, v149, v142
	v_mul_f16_e32 v149, 0x35c8, v124
	v_add_f16_e32 v110, v112, v110
	v_fma_f16 v112, v97, s14, -v130
	v_fma_f16 v150, v104, s26, v149
	v_mul_f16_e32 v83, 0x3b76, v83
	v_add_f16_e32 v110, v112, v110
	v_fma_f16 v112, v104, s18, -v131
	v_add_f16_e32 v142, v150, v142
	v_fma_f16 v150, v72, s34, v83
	v_mul_f16_e32 v87, 0x39e9, v87
	v_add_f16_e32 v110, v112, v110
	v_fma_f16 v112, v72, s36, v132
	v_add_f16_sdwa v150, v150, v29 dst_sel:DWORD dst_unused:UNUSED_PAD src0_sel:DWORD src1_sel:WORD_1
	v_fma_f16 v151, v79, s35, v87
	v_mul_f16_e32 v92, 0x3722, v92
	v_add_f16_sdwa v112, v112, v29 dst_sel:DWORD dst_unused:UNUSED_PAD src0_sel:DWORD src1_sel:WORD_1
	v_fma_f16 v114, v79, s17, v134
	v_add_f16_e32 v150, v151, v150
	v_fma_f16 v151, v82, s31, v92
	v_mul_f16_e32 v98, 0x2de8, v98
	v_add_f16_e32 v112, v114, v112
	v_fma_f16 v114, v82, s20, v135
	v_add_f16_e32 v150, v151, v150
	v_fma_f16 v151, v86, s37, v98
	v_mul_f16_e32 v105, 0xb461, v105
	v_add_f16_e32 v112, v114, v112
	;; [unrolled: 5-line block ×6, first 2 shown]
	v_fma_f16 v114, v107, s34, v140
	v_add_f16_e32 v150, v151, v150
	v_fma_f16 v151, v69, s26, v81
	v_add_f16_e32 v112, v114, v112
	v_fma_f16 v114, v69, s29, -v141
	v_fma_f16 v72, v72, s30, v83
	v_fma_f16 v69, v69, s26, -v81
	v_add_f16_e32 v151, v151, v29
	v_add_f16_e32 v114, v114, v29
	v_add_f16_sdwa v72, v72, v29 dst_sel:DWORD dst_unused:UNUSED_PAD src0_sel:DWORD src1_sel:WORD_1
	v_add_f16_e32 v69, v69, v29
	v_add_f16_sdwa v58, v58, v29 dst_sel:DWORD dst_unused:UNUSED_PAD src0_sel:DWORD src1_sel:WORD_1
	v_add_f16_e32 v29, v30, v29
	v_add_f16_e32 v58, v59, v58
	;; [unrolled: 1-line block ×15, first 2 shown]
	v_mul_f16_e32 v85, 0xb964, v85
	v_add_f16_e32 v58, v63, v58
	v_add_f16_e32 v29, v36, v29
	v_fma_f16 v152, v78, s29, v85
	v_mul_f16_e32 v90, 0xbb29, v90
	v_add_f16_e32 v58, v61, v58
	v_add_f16_e32 v25, v25, v29
	v_add_f16_e32 v151, v152, v151
	v_fma_f16 v152, v80, s25, v90
	v_mul_f16_e32 v95, 0xbbf7, v95
	v_add_f16_e32 v55, v55, v58
	v_add_f16_e32 v25, v26, v25
	v_add_f16_e32 v151, v152, v151
	v_fma_f16 v152, v84, s14, v95
	v_mul_f16_e32 v101, 0xbbb2, v101
	v_add_f16_e32 v55, v56, v55
	v_add_f16_e32 v25, v27, v25
	v_add_f16_e32 v151, v152, v151
	v_fma_f16 v152, v88, s15, v101
	v_mul_f16_e32 v109, 0xba62, v109
	v_add_f16_e32 v55, v57, v55
	v_add_f16_e32 v25, v28, v25
	v_add_f16_e32 v151, v152, v151
	v_fma_f16 v152, v91, s16, v109
	v_mul_f16_e32 v116, 0xb836, v116
	v_add_f16_e32 v51, v51, v55
	v_add_f16_e32 v17, v17, v25
	v_add_f16_e32 v151, v152, v151
	v_fma_f16 v152, v97, s18, v116
	v_mul_f16_e32 v124, 0xb1e1, v124
	v_add_f16_e32 v50, v50, v51
	v_add_f16_e32 v17, v18, v17
	v_add_f16_e32 v151, v152, v151
	v_fma_f16 v152, v104, s21, v124
	v_add_f16_sdwa v49, v49, v50 dst_sel:WORD_1 dst_unused:UNUSED_PAD src0_sel:DWORD src1_sel:DWORD
	v_add_f16_e32 v17, v48, v17
	v_add_f16_e32 v151, v152, v151
	v_fma_f16 v115, v78, s14, -v143
	v_fma_f16 v79, v79, s36, v87
	v_fma_f16 v78, v78, s29, -v85
	v_or_b32_e32 v17, v49, v17
	v_lshlrev_b32_e32 v18, 2, v47
	v_add_f16_e32 v114, v115, v114
	v_fma_f16 v115, v80, s16, -v144
	v_add_f16_e32 v72, v79, v72
	v_fma_f16 v79, v82, s27, v92
	v_add_f16_e32 v69, v78, v69
	v_fma_f16 v78, v80, s25, -v90
	ds_write_b32 v18, v17
	v_pack_b32_f16 v17, v142, v133
	v_pack_b32_f16 v25, v151, v150
	v_add_f16_e32 v114, v115, v114
	v_fma_f16 v115, v84, s21, -v145
	v_add_f16_e32 v72, v79, v72
	v_fma_f16 v79, v86, s17, v98
	v_add_f16_e32 v69, v78, v69
	v_fma_f16 v78, v84, s14, -v95
	ds_write2_b32 v18, v25, v17 offset0:1 offset1:2
	v_pack_b32_f16 v17, v94, v96
	v_pack_b32_f16 v25, v122, v106
	v_add_f16_e32 v114, v115, v114
	v_fma_f16 v115, v88, s18, -v146
	v_add_f16_e32 v72, v79, v72
	v_fma_f16 v79, v89, s19, v105
	v_add_f16_e32 v69, v78, v69
	v_fma_f16 v78, v88, s15, -v101
	ds_write2_b32 v18, v25, v17 offset0:3 offset1:4
	v_pack_b32_f16 v17, v108, v111
	v_pack_b32_f16 v25, v100, v103
	s_mov_b32 s14, 0x5040100
	v_add_f16_e32 v114, v115, v114
	v_fma_f16 v115, v91, s15, -v147
	v_add_f16_e32 v72, v79, v72
	v_fma_f16 v79, v93, s20, v113
	v_add_f16_e32 v69, v78, v69
	v_fma_f16 v78, v91, s16, -v109
	ds_write2_b32 v18, v25, v17 offset0:5 offset1:6
	v_perm_b32 v17, v77, v43, s14
	v_perm_b32 v25, v70, v68, s14
	v_add_f16_e32 v114, v115, v114
	v_fma_f16 v115, v97, s25, -v148
	v_add_f16_e32 v72, v79, v72
	v_fma_f16 v79, v99, s22, v120
	v_add_f16_e32 v69, v78, v69
	v_fma_f16 v78, v97, s18, -v116
	ds_write2_b32 v18, v25, v17 offset0:7 offset1:8
	v_perm_b32 v17, v75, v41, s14
	v_perm_b32 v25, v76, v44, s14
	;; [unrolled: 9-line block ×3, first 2 shown]
	v_add_f16_e32 v114, v115, v114
	v_add_f16_e32 v72, v79, v72
	;; [unrolled: 1-line block ×3, first 2 shown]
	ds_write2_b32 v18, v25, v17 offset0:11 offset1:12
	v_pack_b32_f16 v17, v110, v102
	v_perm_b32 v25, v73, v40, s14
	ds_write2_b32 v18, v25, v17 offset0:13 offset1:14
	v_pack_b32_f16 v17, v69, v72
	v_pack_b32_f16 v25, v114, v112
	ds_write2_b32 v18, v25, v17 offset0:15 offset1:16
.LBB0_17:
	s_or_b64 exec, exec, s[4:5]
	v_add_u32_e32 v25, 0x500, v45
	s_waitcnt lgkmcnt(0)
	s_barrier
	ds_read2_b32 v[27:28], v25 offset0:54 offset1:241
	v_add_u32_e32 v25, 0xb00, v45
	ds_read2_b32 v[17:18], v45 offset1:187
	ds_read2_b32 v[25:26], v25 offset0:44 offset1:231
	ds_read_b32 v29, v45 offset:4488
	s_and_saveexec_b64 s[4:5], s[2:3]
	s_cbranch_execz .LBB0_19
; %bb.18:
	v_add_u32_e32 v30, 0x400, v45
	ds_read_b32 v68, v45 offset:476
	v_add_u32_e32 v31, 0xa00, v45
	ds_read2_b32 v[43:44], v30 offset0:50 offset1:237
	ds_read2_b32 v[41:42], v31 offset0:40 offset1:227
	v_add_u32_e32 v30, 0x1000, v45
	ds_read2_b32 v[39:40], v30 offset0:30 offset1:217
	s_waitcnt lgkmcnt(3)
	v_lshrrev_b32_e32 v70, 16, v68
	s_waitcnt lgkmcnt(2)
	v_lshrrev_b32_e32 v77, 16, v43
	v_lshrrev_b32_e32 v76, 16, v44
	s_waitcnt lgkmcnt(1)
	v_lshrrev_b32_e32 v75, 16, v41
	;; [unrolled: 3-line block ×3, first 2 shown]
	v_lshrrev_b32_e32 v73, 16, v40
.LBB0_19:
	s_or_b64 exec, exec, s[4:5]
	s_waitcnt lgkmcnt(2)
	v_lshrrev_b32_e32 v30, 16, v18
	v_mul_f16_sdwa v36, v4, v30 dst_sel:DWORD dst_unused:UNUSED_PAD src0_sel:WORD_1 src1_sel:DWORD
	v_lshrrev_b32_e32 v31, 16, v27
	v_fma_f16 v36, v4, v18, v36
	v_mul_f16_sdwa v18, v4, v18 dst_sel:DWORD dst_unused:UNUSED_PAD src0_sel:WORD_1 src1_sel:DWORD
	v_fma_f16 v4, v4, v30, -v18
	v_mul_f16_sdwa v18, v5, v31 dst_sel:DWORD dst_unused:UNUSED_PAD src0_sel:WORD_1 src1_sel:DWORD
	v_lshrrev_b32_e32 v32, 16, v28
	v_fma_f16 v18, v5, v27, v18
	v_mul_f16_sdwa v27, v5, v27 dst_sel:DWORD dst_unused:UNUSED_PAD src0_sel:WORD_1 src1_sel:DWORD
	v_fma_f16 v5, v5, v31, -v27
	v_mul_f16_sdwa v27, v6, v32 dst_sel:DWORD dst_unused:UNUSED_PAD src0_sel:WORD_1 src1_sel:DWORD
	s_waitcnt lgkmcnt(1)
	v_lshrrev_b32_e32 v33, 16, v25
	v_fma_f16 v27, v6, v28, v27
	v_mul_f16_sdwa v28, v6, v28 dst_sel:DWORD dst_unused:UNUSED_PAD src0_sel:WORD_1 src1_sel:DWORD
	v_fma_f16 v6, v6, v32, -v28
	v_mul_f16_sdwa v28, v7, v33 dst_sel:DWORD dst_unused:UNUSED_PAD src0_sel:WORD_1 src1_sel:DWORD
	v_lshrrev_b32_e32 v34, 16, v26
	v_fma_f16 v28, v7, v25, v28
	v_mul_f16_sdwa v25, v7, v25 dst_sel:DWORD dst_unused:UNUSED_PAD src0_sel:WORD_1 src1_sel:DWORD
	v_fma_f16 v7, v7, v33, -v25
	v_mul_f16_sdwa v25, v21, v34 dst_sel:DWORD dst_unused:UNUSED_PAD src0_sel:WORD_1 src1_sel:DWORD
	s_waitcnt lgkmcnt(0)
	v_lshrrev_b32_e32 v35, 16, v29
	v_fma_f16 v25, v21, v26, v25
	v_mul_f16_sdwa v26, v21, v26 dst_sel:DWORD dst_unused:UNUSED_PAD src0_sel:WORD_1 src1_sel:DWORD
	v_fma_f16 v21, v21, v34, -v26
	v_mul_f16_sdwa v26, v22, v35 dst_sel:DWORD dst_unused:UNUSED_PAD src0_sel:WORD_1 src1_sel:DWORD
	v_fma_f16 v26, v22, v29, v26
	v_mul_f16_sdwa v29, v22, v29 dst_sel:DWORD dst_unused:UNUSED_PAD src0_sel:WORD_1 src1_sel:DWORD
	v_fma_f16 v22, v22, v35, -v29
	v_add_f16_e32 v29, v36, v26
	v_add_f16_e32 v30, v4, v22
	v_sub_f16_e32 v4, v4, v22
	v_add_f16_e32 v22, v18, v25
	v_add_f16_e32 v31, v5, v21
	v_sub_f16_e32 v18, v18, v25
	v_sub_f16_e32 v5, v5, v21
	v_add_f16_e32 v21, v27, v28
	v_add_f16_e32 v25, v6, v7
	v_sub_f16_e32 v27, v28, v27
	;; [unrolled: 4-line block ×3, first 2 shown]
	v_sub_f16_e32 v32, v22, v29
	v_sub_f16_e32 v29, v29, v21
	;; [unrolled: 1-line block ×3, first 2 shown]
	v_add_f16_e32 v34, v27, v18
	v_add_f16_e32 v7, v21, v7
	;; [unrolled: 1-line block ×3, first 2 shown]
	v_sub_f16_e32 v33, v31, v30
	v_sub_f16_e32 v30, v30, v25
	;; [unrolled: 1-line block ×3, first 2 shown]
	v_add_f16_e32 v35, v6, v5
	v_sub_f16_e32 v36, v27, v18
	v_sub_f16_e32 v37, v6, v5
	;; [unrolled: 1-line block ×5, first 2 shown]
	v_add_f16_e32 v25, v34, v26
	v_add_f16_e32 v26, v7, v17
	v_add_f16_sdwa v17, v21, v17 dst_sel:DWORD dst_unused:UNUSED_PAD src0_sel:DWORD src1_sel:WORD_1
	v_sub_f16_e32 v6, v4, v6
	v_add_f16_e32 v4, v35, v4
	v_lshlrev_b32_e32 v28, 16, v17
	v_mul_f16_e32 v29, 0x3a52, v29
	v_mul_f16_e32 v30, 0x3a52, v30
	s_movk_i32 s19, 0x2b26
	v_mul_f16_e32 v34, 0x2b26, v22
	v_mul_f16_e32 v35, 0x2b26, v31
	;; [unrolled: 1-line block ×4, first 2 shown]
	s_mov_b32 s14, 0xbb00
	v_mul_f16_e32 v38, 0xbb00, v18
	v_mul_f16_e32 v47, 0xbb00, v5
	s_mov_b32 s20, 0xbcab
	s_movk_i32 s15, 0x39e0
	s_mov_b32 s16, 0xb9e0
	s_mov_b32 s21, 0xb574
	s_movk_i32 s17, 0x3574
	v_or_b32_e32 v28, v28, v26
	v_fma_f16 v7, v7, s20, v26
	v_fma_f16 v17, v21, s20, v17
	;; [unrolled: 1-line block ×4, first 2 shown]
	v_fma_f16 v26, v32, s15, -v34
	v_fma_f16 v31, v33, s15, -v35
	v_fma_f16 v29, v32, s16, -v29
	v_fma_f16 v30, v33, s16, -v30
	v_fma_f16 v32, v27, s21, v36
	v_fma_f16 v33, v6, s21, v37
	v_fma_f16 v18, v18, s14, -v36
	v_fma_f16 v5, v5, s14, -v37
	;; [unrolled: 1-line block ×4, first 2 shown]
	s_mov_b32 s18, 0xb70e
	v_add_f16_e32 v21, v21, v7
	v_add_f16_e32 v22, v22, v17
	;; [unrolled: 1-line block ×6, first 2 shown]
	v_fma_f16 v29, v25, s18, v32
	v_fma_f16 v30, v4, s18, v33
	;; [unrolled: 1-line block ×6, first 2 shown]
	v_add_f16_e32 v6, v30, v21
	v_sub_f16_e32 v27, v22, v29
	v_add_f16_e32 v32, v4, v7
	v_sub_f16_e32 v34, v26, v5
	v_add_f16_e32 v35, v18, v31
	v_add_f16_e32 v5, v5, v26
	v_sub_f16_e32 v18, v31, v18
	v_sub_f16_e32 v4, v7, v4
	v_add_f16_e32 v7, v25, v17
	v_sub_f16_e32 v33, v17, v25
	v_sub_f16_e32 v17, v21, v30
	v_add_f16_e32 v21, v29, v22
	v_pack_b32_f16 v6, v6, v27
	v_pack_b32_f16 v5, v5, v18
	;; [unrolled: 1-line block ×3, first 2 shown]
	s_barrier
	ds_write2_b32 v54, v28, v6 offset1:17
	v_pack_b32_f16 v6, v32, v33
	v_pack_b32_f16 v22, v34, v35
	ds_write2_b32 v54, v5, v4 offset0:68 offset1:85
	v_pack_b32_f16 v4, v17, v21
	ds_write2_b32 v54, v6, v22 offset0:34 offset1:51
	ds_write_b32 v54, v4 offset:408
	s_and_saveexec_b64 s[4:5], s[2:3]
	s_cbranch_execz .LBB0_21
; %bb.20:
	v_mul_f16_sdwa v5, v20, v73 dst_sel:DWORD dst_unused:UNUSED_PAD src0_sel:WORD_1 src1_sel:DWORD
	v_mul_f16_sdwa v17, v2, v75 dst_sel:DWORD dst_unused:UNUSED_PAD src0_sel:WORD_1 src1_sel:DWORD
	;; [unrolled: 1-line block ×7, first 2 shown]
	v_fma_f16 v5, v20, v40, v5
	v_mul_f16_sdwa v7, v3, v74 dst_sel:DWORD dst_unused:UNUSED_PAD src0_sel:WORD_1 src1_sel:DWORD
	v_fma_f16 v17, v2, v41, v17
	v_mul_f16_sdwa v22, v1, v76 dst_sel:DWORD dst_unused:UNUSED_PAD src0_sel:WORD_1 src1_sel:DWORD
	v_fma_f16 v25, v19, v39, v25
	v_fma_f16 v20, v20, v73, -v29
	v_mul_f16_sdwa v29, v0, v43 dst_sel:DWORD dst_unused:UNUSED_PAD src0_sel:WORD_1 src1_sel:DWORD
	v_fma_f16 v2, v2, v75, -v30
	v_mul_f16_sdwa v30, v3, v42 dst_sel:DWORD dst_unused:UNUSED_PAD src0_sel:WORD_1 src1_sel:DWORD
	v_fma_f16 v19, v19, v71, -v32
	v_mul_f16_sdwa v32, v1, v44 dst_sel:DWORD dst_unused:UNUSED_PAD src0_sel:WORD_1 src1_sel:DWORD
	v_fma_f16 v4, v0, v43, v4
	v_fma_f16 v7, v3, v42, v7
	;; [unrolled: 1-line block ×3, first 2 shown]
	v_fma_f16 v0, v0, v77, -v29
	v_fma_f16 v3, v3, v74, -v30
	;; [unrolled: 1-line block ×3, first 2 shown]
	v_sub_f16_e32 v6, v4, v5
	v_sub_f16_e32 v18, v7, v17
	;; [unrolled: 1-line block ×3, first 2 shown]
	v_add_f16_e32 v29, v20, v0
	v_add_f16_e32 v30, v2, v3
	;; [unrolled: 1-line block ×3, first 2 shown]
	v_sub_f16_e32 v0, v0, v20
	v_sub_f16_e32 v2, v3, v2
	;; [unrolled: 1-line block ×5, first 2 shown]
	v_add_f16_e32 v18, v18, v26
	v_add_f16_e32 v4, v5, v4
	;; [unrolled: 1-line block ×4, first 2 shown]
	v_sub_f16_e32 v3, v0, v2
	v_sub_f16_e32 v19, v2, v1
	v_add_f16_e32 v2, v2, v1
	v_add_f16_e32 v18, v18, v6
	;; [unrolled: 1-line block ×5, first 2 shown]
	v_sub_f16_e32 v6, v26, v6
	v_sub_f16_e32 v0, v1, v0
	v_mul_f16_e32 v27, 0x3846, v27
	v_sub_f16_e32 v31, v29, v30
	v_sub_f16_e32 v33, v30, v32
	v_add_f16_e32 v30, v30, v35
	v_sub_f16_e32 v7, v4, v5
	v_sub_f16_e32 v22, v5, v17
	v_add_f16_e32 v5, v5, v37
	v_mul_f16_e32 v19, 0x3846, v19
	v_mul_f16_e32 v26, 0xbb00, v6
	;; [unrolled: 1-line block ×3, first 2 shown]
	v_fma_f16 v28, v21, s21, v27
	v_mul_f16_e32 v31, 0x3a52, v31
	v_mul_f16_e32 v34, 0x2b26, v33
	v_add_f16_e32 v35, v70, v30
	v_mul_f16_e32 v7, 0x3a52, v7
	v_mul_f16_e32 v25, 0x2b26, v22
	v_add_f16_e32 v37, v68, v5
	v_fma_f16 v20, v3, s21, v19
	v_fma_f16 v21, v21, s17, -v26
	v_sub_f16_e32 v26, v32, v29
	v_sub_f16_e32 v4, v17, v4
	v_fma_f16 v1, v3, s17, -v1
	v_fma_f16 v0, v0, s14, -v19
	v_fma_f16 v30, v30, s20, v35
	v_fma_f16 v22, v22, s19, v7
	;; [unrolled: 1-line block ×4, first 2 shown]
	v_fma_f16 v29, v26, s16, -v31
	v_fma_f16 v7, v4, s16, -v7
	v_fma_f16 v1, v2, s18, v1
	v_fma_f16 v17, v26, s15, -v34
	v_fma_f16 v6, v6, s14, -v27
	v_fma_f16 v0, v2, s18, v0
	v_fma_f16 v2, v4, s15, -v25
	v_fma_f16 v21, v18, s18, v21
	v_add_f16_e32 v29, v29, v30
	v_add_f16_e32 v7, v7, v5
	;; [unrolled: 1-line block ×3, first 2 shown]
	v_fma_f16 v6, v18, s18, v6
	v_add_f16_e32 v2, v2, v5
	v_fma_f16 v28, v18, s18, v28
	v_fma_f16 v33, v33, s19, v31
	v_add_f16_e32 v22, v22, v5
	v_sub_f16_e32 v3, v7, v1
	v_sub_f16_e32 v18, v17, v6
	v_add_f16_e32 v4, v0, v2
	v_add_f16_e32 v5, v6, v17
	v_sub_f16_e32 v0, v2, v0
	v_sub_f16_e32 v2, v29, v21
	v_add_f16_e32 v1, v1, v7
	v_mul_u32_u24_e32 v17, 0x77, v52
	v_add_f16_e32 v33, v33, v30
	v_add_f16_e32 v31, v21, v29
	v_add_lshl_u32 v17, v17, v53, 2
	v_pack_b32_f16 v1, v1, v2
	v_pack_b32_f16 v0, v0, v5
	v_add_f16_e32 v36, v28, v33
	v_sub_f16_e32 v38, v22, v20
	v_sub_f16_e32 v6, v33, v28
	v_add_f16_e32 v7, v20, v22
	ds_write2_b32 v17, v1, v0 offset0:34 offset1:51
	v_pack_b32_f16 v0, v4, v18
	v_pack_b32_f16 v1, v3, v31
	;; [unrolled: 1-line block ×4, first 2 shown]
	ds_write2_b32 v17, v0, v1 offset0:68 offset1:85
	v_pack_b32_f16 v0, v38, v36
	ds_write2_b32 v17, v19, v6 offset1:17
	ds_write_b32 v17, v0 offset:408
.LBB0_21:
	s_or_b64 exec, exec, s[4:5]
	s_waitcnt lgkmcnt(0)
	s_barrier
	ds_read2_b32 v[17:18], v45 offset0:119 offset1:238
	ds_read_b32 v1, v45
	v_add_u32_e32 v6, 0x400, v45
	ds_read2_b32 v[19:20], v6 offset0:101 offset1:220
	v_add_u32_e32 v4, 0x800, v45
	s_waitcnt lgkmcnt(2)
	v_lshrrev_b32_e32 v3, 16, v17
	ds_read2_b32 v[21:22], v4 offset0:83 offset1:202
	v_add_u32_e32 v2, 0xc00, v45
	v_mul_f16_sdwa v36, v8, v3 dst_sel:DWORD dst_unused:UNUSED_PAD src0_sel:WORD_1 src1_sel:DWORD
	v_lshrrev_b32_e32 v5, 16, v18
	ds_read2_b32 v[25:26], v2 offset0:65 offset1:184
	v_fma_f16 v36, v8, v17, v36
	v_mul_f16_sdwa v17, v8, v17 dst_sel:DWORD dst_unused:UNUSED_PAD src0_sel:WORD_1 src1_sel:DWORD
	s_waitcnt lgkmcnt(2)
	v_lshrrev_b32_e32 v7, 16, v19
	v_add_u32_e32 v0, 0x1000, v45
	v_fma_f16 v3, v8, v3, -v17
	v_mul_f16_sdwa v8, v9, v5 dst_sel:DWORD dst_unused:UNUSED_PAD src0_sel:WORD_1 src1_sel:DWORD
	v_mul_f16_sdwa v17, v9, v18 dst_sel:DWORD dst_unused:UNUSED_PAD src0_sel:WORD_1 src1_sel:DWORD
	v_lshrrev_b32_e32 v29, 16, v20
	ds_read2_b32 v[27:28], v0 offset0:47 offset1:166
	v_fma_f16 v8, v9, v18, v8
	v_fma_f16 v5, v9, v5, -v17
	v_mul_f16_sdwa v9, v10, v7 dst_sel:DWORD dst_unused:UNUSED_PAD src0_sel:WORD_1 src1_sel:DWORD
	v_mul_f16_sdwa v17, v10, v19 dst_sel:DWORD dst_unused:UNUSED_PAD src0_sel:WORD_1 src1_sel:DWORD
	s_waitcnt lgkmcnt(2)
	v_lshrrev_b32_e32 v30, 16, v21
	v_fma_f16 v9, v10, v19, v9
	v_fma_f16 v7, v10, v7, -v17
	v_mul_f16_sdwa v10, v11, v29 dst_sel:DWORD dst_unused:UNUSED_PAD src0_sel:WORD_1 src1_sel:DWORD
	v_mul_f16_sdwa v17, v11, v20 dst_sel:DWORD dst_unused:UNUSED_PAD src0_sel:WORD_1 src1_sel:DWORD
	v_lshrrev_b32_e32 v31, 16, v22
	v_fma_f16 v10, v11, v20, v10
	v_fma_f16 v11, v11, v29, -v17
	v_mul_f16_sdwa v17, v12, v30 dst_sel:DWORD dst_unused:UNUSED_PAD src0_sel:WORD_1 src1_sel:DWORD
	v_mul_f16_sdwa v18, v12, v21 dst_sel:DWORD dst_unused:UNUSED_PAD src0_sel:WORD_1 src1_sel:DWORD
	s_waitcnt lgkmcnt(1)
	v_lshrrev_b32_e32 v32, 16, v25
	v_fma_f16 v17, v12, v21, v17
	v_fma_f16 v12, v12, v30, -v18
	v_mul_f16_sdwa v18, v13, v31 dst_sel:DWORD dst_unused:UNUSED_PAD src0_sel:WORD_1 src1_sel:DWORD
	v_mul_f16_sdwa v19, v13, v22 dst_sel:DWORD dst_unused:UNUSED_PAD src0_sel:WORD_1 src1_sel:DWORD
	v_lshrrev_b32_e32 v33, 16, v26
	;; [unrolled: 11-line block ×3, first 2 shown]
	v_fma_f16 v20, v15, v26, v20
	v_fma_f16 v15, v15, v33, -v21
	v_mul_f16_sdwa v21, v23, v34 dst_sel:DWORD dst_unused:UNUSED_PAD src0_sel:WORD_1 src1_sel:DWORD
	v_mul_f16_sdwa v22, v23, v27 dst_sel:DWORD dst_unused:UNUSED_PAD src0_sel:WORD_1 src1_sel:DWORD
	v_fma_f16 v21, v23, v27, v21
	v_fma_f16 v22, v23, v34, -v22
	v_mul_f16_sdwa v23, v24, v35 dst_sel:DWORD dst_unused:UNUSED_PAD src0_sel:WORD_1 src1_sel:DWORD
	v_mul_f16_sdwa v25, v24, v28 dst_sel:DWORD dst_unused:UNUSED_PAD src0_sel:WORD_1 src1_sel:DWORD
	v_fma_f16 v23, v24, v28, v23
	v_fma_f16 v24, v24, v35, -v25
	v_add_f16_e32 v25, v36, v1
	v_add_f16_sdwa v26, v3, v1 dst_sel:DWORD dst_unused:UNUSED_PAD src0_sel:DWORD src1_sel:WORD_1
	v_add_f16_e32 v25, v25, v8
	v_add_f16_e32 v26, v26, v5
	;; [unrolled: 1-line block ×17, first 2 shown]
	v_add_f16_sdwa v26, v26, v24 dst_sel:WORD_1 dst_unused:UNUSED_PAD src0_sel:DWORD src1_sel:DWORD
	v_add_f16_e32 v27, v3, v24
	v_sub_f16_e32 v3, v3, v24
	v_or_b32_e32 v25, v26, v25
	v_add_f16_e32 v26, v36, v23
	v_sub_f16_e32 v23, v36, v23
	s_mov_b32 s15, 0xb853
	v_mul_f16_e32 v24, 0xb853, v3
	s_movk_i32 s16, 0x3abb
	v_mul_f16_e32 v29, 0x3abb, v27
	s_movk_i32 s17, 0x3853
	s_mov_b32 s3, 0xbb47
	v_mul_f16_e32 v31, 0xbb47, v3
	s_movk_i32 s4, 0x36a6
	v_mul_f16_e32 v33, 0x36a6, v27
	s_movk_i32 s5, 0x3b47
	s_mov_b32 s2, 0xbbeb
	v_mul_f16_e32 v35, 0xbbeb, v3
	s_mov_b32 s14, 0xb08e
	v_mul_f16_e32 v37, 0xb08e, v27
	s_movk_i32 s18, 0x3beb
	s_mov_b32 s20, 0xba0c
	v_mul_f16_e32 v39, 0xba0c, v3
	s_mov_b32 s21, 0xb93d
	;; [unrolled: 5-line block ×3, first 2 shown]
	v_mul_f16_e32 v27, 0xbbad, v27
	s_movk_i32 s25, 0x3482
	v_fma_f16 v28, v26, s16, v24
	v_fma_f16 v30, v23, s17, v29
	v_fma_f16 v24, v26, s16, -v24
	v_fma_f16 v29, v23, s15, v29
	v_fma_f16 v32, v26, s4, v31
	v_fma_f16 v34, v23, s5, v33
	v_fma_f16 v31, v26, s4, -v31
	v_fma_f16 v33, v23, s3, v33
	v_fma_f16 v36, v26, s14, v35
	v_fma_f16 v38, v23, s18, v37
	v_fma_f16 v35, v26, s14, -v35
	v_fma_f16 v37, v23, s2, v37
	v_fma_f16 v40, v26, s21, v39
	v_fma_f16 v42, v23, s22, v41
	v_fma_f16 v39, v26, s21, -v39
	v_fma_f16 v41, v23, s20, v41
	v_fma_f16 v43, v26, s24, v3
	v_fma_f16 v44, v23, s25, v27
	v_fma_f16 v3, v26, s24, -v3
	v_fma_f16 v23, v23, s23, v27
	v_add_f16_e32 v26, v5, v22
	v_sub_f16_e32 v5, v5, v22
	v_add_f16_e32 v28, v28, v1
	v_add_f16_sdwa v30, v30, v1 dst_sel:DWORD dst_unused:UNUSED_PAD src0_sel:DWORD src1_sel:WORD_1
	v_add_f16_e32 v24, v24, v1
	v_add_f16_sdwa v29, v29, v1 dst_sel:DWORD dst_unused:UNUSED_PAD src0_sel:DWORD src1_sel:WORD_1
	;; [unrolled: 2-line block ×10, first 2 shown]
	v_add_f16_e32 v23, v8, v21
	v_sub_f16_e32 v8, v8, v21
	v_mul_f16_e32 v21, 0xbb47, v5
	v_fma_f16 v22, v23, s4, v21
	v_mul_f16_e32 v27, 0x36a6, v26
	v_fma_f16 v21, v23, s4, -v21
	v_add_f16_e32 v22, v22, v28
	v_fma_f16 v28, v8, s5, v27
	v_add_f16_e32 v21, v21, v24
	v_fma_f16 v24, v8, s3, v27
	v_mul_f16_e32 v27, 0xba0c, v5
	v_add_f16_e32 v28, v28, v30
	v_add_f16_e32 v24, v24, v29
	v_fma_f16 v29, v23, s21, v27
	v_mul_f16_e32 v30, 0xb93d, v26
	v_fma_f16 v27, v23, s21, -v27
	v_add_f16_e32 v29, v29, v32
	v_fma_f16 v32, v8, s22, v30
	v_add_f16_e32 v27, v27, v31
	v_fma_f16 v30, v8, s20, v30
	v_mul_f16_e32 v31, 0x3482, v5
	v_add_f16_e32 v32, v32, v34
	v_add_f16_e32 v30, v30, v33
	;; [unrolled: 10-line block ×3, first 2 shown]
	v_fma_f16 v37, v23, s14, v35
	v_mul_f16_e32 v38, 0xb08e, v26
	v_fma_f16 v35, v23, s14, -v35
	v_mul_f16_e32 v5, 0x3853, v5
	v_add_f16_e32 v37, v37, v40
	v_fma_f16 v40, v8, s2, v38
	v_add_f16_e32 v35, v35, v39
	v_fma_f16 v38, v8, s18, v38
	v_fma_f16 v39, v23, s16, v5
	v_mul_f16_e32 v26, 0x3abb, v26
	v_fma_f16 v5, v23, s16, -v5
	v_add_f16_e32 v38, v38, v41
	v_fma_f16 v41, v8, s15, v26
	v_add_f16_e32 v3, v5, v3
	v_fma_f16 v5, v8, s17, v26
	v_add_f16_e32 v8, v7, v15
	v_sub_f16_e32 v7, v7, v15
	v_add_f16_e32 v1, v5, v1
	v_add_f16_e32 v5, v9, v20
	v_mul_f16_e32 v15, 0xbbeb, v7
	v_sub_f16_e32 v9, v9, v20
	v_fma_f16 v20, v5, s14, v15
	v_add_f16_e32 v20, v20, v22
	v_mul_f16_e32 v22, 0xb08e, v8
	v_fma_f16 v15, v5, s14, -v15
	v_fma_f16 v23, v9, s18, v22
	v_add_f16_e32 v15, v15, v21
	v_fma_f16 v21, v9, s2, v22
	v_mul_f16_e32 v22, 0x3482, v7
	v_add_f16_e32 v21, v21, v24
	v_fma_f16 v24, v5, s24, v22
	v_fma_f16 v22, v5, s24, -v22
	v_mul_f16_e32 v26, 0xbbad, v8
	v_add_f16_e32 v22, v22, v27
	v_mul_f16_e32 v27, 0x3b47, v7
	v_add_f16_e32 v23, v23, v28
	v_add_f16_e32 v24, v24, v29
	v_fma_f16 v28, v9, s23, v26
	v_fma_f16 v26, v9, s25, v26
	;; [unrolled: 1-line block ×3, first 2 shown]
	v_fma_f16 v27, v5, s4, -v27
	v_add_f16_e32 v26, v26, v30
	v_mul_f16_e32 v30, 0x36a6, v8
	v_add_f16_e32 v27, v27, v31
	v_mul_f16_e32 v31, 0xb853, v7
	v_add_f16_e32 v28, v28, v32
	v_add_f16_e32 v29, v29, v33
	v_fma_f16 v32, v9, s3, v30
	v_fma_f16 v30, v9, s5, v30
	;; [unrolled: 1-line block ×3, first 2 shown]
	v_fma_f16 v31, v5, s16, -v31
	v_mul_f16_e32 v7, 0xba0c, v7
	v_add_f16_e32 v30, v30, v34
	v_mul_f16_e32 v34, 0x3abb, v8
	v_add_f16_e32 v31, v31, v35
	v_fma_f16 v35, v5, s21, v7
	v_mul_f16_e32 v8, 0xb93d, v8
	v_fma_f16 v5, v5, s21, -v7
	v_add_f16_e32 v32, v32, v36
	v_add_f16_e32 v33, v33, v37
	v_fma_f16 v36, v9, s17, v34
	v_fma_f16 v34, v9, s15, v34
	;; [unrolled: 1-line block ×3, first 2 shown]
	v_add_f16_e32 v3, v5, v3
	v_fma_f16 v5, v9, s20, v8
	v_sub_f16_e32 v9, v11, v14
	v_add_f16_e32 v1, v5, v1
	v_add_f16_e32 v5, v10, v19
	v_sub_f16_e32 v8, v10, v19
	v_mul_f16_e32 v10, 0xba0c, v9
	v_add_f16_e32 v7, v11, v14
	v_fma_f16 v11, v5, s21, v10
	v_fma_f16 v10, v5, s21, -v10
	v_mul_f16_e32 v14, 0xb93d, v7
	v_add_f16_e32 v10, v10, v15
	v_mul_f16_e32 v15, 0x3beb, v9
	v_add_f16_e32 v11, v11, v20
	v_fma_f16 v19, v8, s22, v14
	v_fma_f16 v14, v8, s20, v14
	;; [unrolled: 1-line block ×3, first 2 shown]
	v_fma_f16 v15, v5, s14, -v15
	v_add_f16_e32 v14, v14, v21
	v_mul_f16_e32 v21, 0xb08e, v7
	v_add_f16_e32 v15, v15, v22
	v_mul_f16_e32 v22, 0xb853, v9
	v_add_f16_e32 v19, v19, v23
	v_add_f16_e32 v20, v20, v24
	v_fma_f16 v23, v8, s2, v21
	v_fma_f16 v21, v8, s18, v21
	;; [unrolled: 1-line block ×3, first 2 shown]
	v_fma_f16 v22, v5, s16, -v22
	v_add_f16_e32 v21, v21, v26
	v_mul_f16_e32 v26, 0x3abb, v7
	v_add_f16_e32 v22, v22, v27
	v_mul_f16_e32 v27, 0xb482, v9
	v_add_f16_e32 v23, v23, v28
	v_add_f16_e32 v24, v24, v29
	v_fma_f16 v28, v8, s17, v26
	v_fma_f16 v26, v8, s15, v26
	;; [unrolled: 1-line block ×3, first 2 shown]
	v_fma_f16 v27, v5, s24, -v27
	v_mul_f16_e32 v9, 0x3b47, v9
	v_add_f16_e32 v26, v26, v30
	v_mul_f16_e32 v30, 0xbbad, v7
	v_add_f16_e32 v27, v27, v31
	v_fma_f16 v31, v5, s4, v9
	v_mul_f16_e32 v7, 0x36a6, v7
	v_fma_f16 v5, v5, s4, -v9
	v_add_f16_e32 v3, v5, v3
	v_fma_f16 v5, v8, s5, v7
	v_sub_f16_e32 v9, v12, v13
	v_add_f16_e32 v29, v29, v33
	v_fma_f16 v33, v8, s3, v7
	v_add_f16_e32 v1, v5, v1
	v_add_f16_e32 v5, v17, v18
	v_add_f16_e32 v7, v12, v13
	v_mul_f16_e32 v12, 0xb482, v9
	v_fma_f16 v13, v5, s24, v12
	v_add_f16_e32 v28, v28, v32
	v_fma_f16 v32, v8, s25, v30
	v_fma_f16 v30, v8, s23, v30
	v_sub_f16_e32 v8, v17, v18
	v_add_f16_e32 v11, v13, v11
	v_mul_f16_e32 v13, 0xbbad, v7
	v_fma_f16 v12, v5, s24, -v12
	v_fma_f16 v17, v8, s25, v13
	v_add_f16_e32 v10, v12, v10
	v_fma_f16 v12, v8, s23, v13
	v_mul_f16_e32 v13, 0x3853, v9
	v_add_f16_e32 v12, v12, v14
	v_fma_f16 v14, v5, s16, v13
	v_mul_f16_e32 v18, 0x3abb, v7
	v_fma_f16 v13, v5, s16, -v13
	v_add_f16_e32 v17, v17, v19
	v_fma_f16 v19, v8, s15, v18
	v_add_f16_e32 v13, v13, v15
	v_fma_f16 v15, v8, s17, v18
	v_mul_f16_e32 v18, 0xba0c, v9
	v_add_f16_e32 v14, v14, v20
	v_fma_f16 v20, v5, s21, v18
	v_fma_f16 v18, v5, s21, -v18
	v_add_f16_e32 v15, v15, v21
	v_mul_f16_e32 v21, 0xb93d, v7
	v_add_f16_e32 v18, v18, v22
	v_mul_f16_e32 v22, 0x3b47, v9
	v_add_f16_e32 v19, v19, v23
	v_add_f16_e32 v20, v20, v24
	v_fma_f16 v23, v8, s22, v21
	v_fma_f16 v21, v8, s20, v21
	;; [unrolled: 1-line block ×3, first 2 shown]
	v_fma_f16 v22, v5, s4, -v22
	v_mul_f16_e32 v9, 0xbbeb, v9
	v_add_f16_e32 v40, v40, v42
	v_add_f16_e32 v39, v39, v43
	v_add_f16_e32 v41, v41, v44
	v_add_f16_e32 v21, v21, v26
	v_mul_f16_e32 v26, 0x36a6, v7
	v_add_f16_e32 v22, v22, v27
	v_fma_f16 v27, v5, s14, v9
	v_mul_f16_e32 v7, 0xb08e, v7
	v_fma_f16 v5, v5, s14, -v9
	v_add_f16_e32 v36, v36, v40
	v_add_f16_e32 v35, v35, v39
	v_add_f16_e32 v37, v37, v41
	v_add_f16_e32 v3, v5, v3
	v_fma_f16 v5, v8, s2, v7
	v_add_f16_e32 v34, v34, v38
	v_add_f16_e32 v32, v32, v36
	;; [unrolled: 1-line block ×6, first 2 shown]
	v_fma_f16 v28, v8, s3, v26
	v_fma_f16 v29, v8, s18, v7
	v_add_f16_e32 v1, v5, v1
	v_pack_b32_f16 v5, v11, v17
	v_add_f16_e32 v30, v30, v34
	v_add_f16_e32 v28, v28, v32
	v_fma_f16 v26, v8, s5, v26
	v_add_f16_e32 v27, v27, v31
	v_add_f16_e32 v29, v29, v33
	ds_write_b32 v45, v5 offset:476
	v_pack_b32_f16 v5, v14, v19
	v_pack_b32_f16 v8, v20, v23
	v_add_u32_e32 v7, 0x200, v45
	v_add_f16_e32 v26, v26, v30
	ds_write2_b32 v7, v5, v8 offset0:110 offset1:229
	v_pack_b32_f16 v5, v24, v28
	v_pack_b32_f16 v8, v27, v29
	v_add_u32_e32 v9, 0x600, v45
	ds_write2_b32 v9, v5, v8 offset0:92 offset1:211
	v_pack_b32_f16 v1, v3, v1
	v_pack_b32_f16 v3, v22, v26
	v_add_u32_e32 v5, 0xa00, v45
	;; [unrolled: 4-line block ×3, first 2 shown]
	s_movk_i32 s19, 0x1000
	ds_write2_b32 v3, v1, v8 offset0:56 offset1:175
	v_pack_b32_f16 v1, v10, v12
	ds_write_b32 v45, v25
	ds_write_b32 v45, v1 offset:4760
	s_waitcnt lgkmcnt(0)
	s_barrier
	s_and_b64 exec, exec, s[0:1]
	s_cbranch_execz .LBB0_23
; %bb.22:
	global_load_dword v15, v45, s[6:7]
	ds_read_b32 v17, v45
	v_mad_u64_u32 v[8:9], s[0:1], s10, v16, 0
	v_mad_u64_u32 v[10:11], s[0:1], s8, v46, 0
	s_mov_b32 s14, 0xd336f476
	s_mov_b32 s15, 0x3f490868
	v_mad_u64_u32 v[12:13], s[0:1], s11, v16, v[9:10]
	v_mov_b32_e32 v16, s13
	s_movk_i32 s16, 0x1ff
	v_mad_u64_u32 v[13:14], s[0:1], s9, v46, v[11:12]
	s_waitcnt lgkmcnt(0)
	v_lshrrev_b32_e32 v14, 16, v17
	v_mov_b32_e32 v9, v12
	v_mov_b32_e32 v11, v13
	v_lshlrev_b64 v[8:9], 2, v[8:9]
	v_lshlrev_b64 v[10:11], 2, v[10:11]
	s_movk_i32 s10, 0xffe
	v_mov_b32_e32 v1, 0x7c00
	s_movk_i32 s18, 0x40f
	s_mov_b32 s17, 0x8000
	s_waitcnt vmcnt(0)
	v_mul_f16_sdwa v12, v14, v15 dst_sel:DWORD dst_unused:UNUSED_PAD src0_sel:DWORD src1_sel:WORD_1
	v_fma_f16 v12, v17, v15, v12
	v_mul_f16_sdwa v13, v17, v15 dst_sel:DWORD dst_unused:UNUSED_PAD src0_sel:DWORD src1_sel:WORD_1
	v_cvt_f32_f16_e32 v12, v12
	v_fma_f16 v13, v15, v14, -v13
	v_cvt_f32_f16_e32 v14, v13
	v_add_co_u32_e32 v17, vcc, s12, v8
	v_cvt_f64_f32_e32 v[12:13], v12
	v_cvt_f64_f32_e32 v[14:15], v14
	v_addc_co_u32_e32 v16, vcc, v16, v9, vcc
	v_mul_f64 v[12:13], v[12:13], s[14:15]
	v_mul_f64 v[8:9], v[14:15], s[14:15]
	v_add_co_u32_e32 v10, vcc, v17, v10
	v_addc_co_u32_e32 v11, vcc, v16, v11, vcc
	v_and_or_b32 v12, v13, s16, v12
	v_and_or_b32 v8, v9, s16, v8
	v_cmp_ne_u32_e32 vcc, 0, v12
	v_lshrrev_b32_e32 v14, 8, v13
	v_bfe_u32 v15, v13, 20, 11
	v_cndmask_b32_e64 v12, 0, 1, vcc
	v_cmp_ne_u32_e32 vcc, 0, v8
	v_lshrrev_b32_e32 v16, 8, v9
	v_bfe_u32 v17, v9, 20, 11
	v_sub_u32_e32 v18, 0x3f1, v15
	v_cndmask_b32_e64 v8, 0, 1, vcc
	v_and_or_b32 v12, v14, s10, v12
	v_sub_u32_e32 v19, 0x3f1, v17
	v_med3_i32 v14, v18, 0, 13
	v_and_or_b32 v8, v16, s10, v8
	v_or_b32_e32 v18, 0x1000, v12
	v_add_u32_e32 v15, 0xfffffc10, v15
	v_med3_i32 v16, v19, 0, 13
	v_cmp_ne_u32_e32 vcc, 0, v12
	v_or_b32_e32 v20, 0x1000, v8
	v_lshrrev_b32_e32 v22, v14, v18
	v_add_u32_e32 v17, 0xfffffc10, v17
	v_lshl_or_b32 v19, v15, 12, v12
	v_cndmask_b32_e64 v12, 0, 1, vcc
	v_cmp_ne_u32_e32 vcc, 0, v8
	v_lshrrev_b32_e32 v23, v16, v20
	v_lshlrev_b32_e32 v14, v14, v22
	v_lshl_or_b32 v21, v17, 12, v8
	v_cndmask_b32_e64 v8, 0, 1, vcc
	v_lshlrev_b32_e32 v16, v16, v23
	v_cmp_ne_u32_e32 vcc, v14, v18
	v_cndmask_b32_e64 v14, 0, 1, vcc
	v_cmp_ne_u32_e32 vcc, v16, v20
	v_cndmask_b32_e64 v16, 0, 1, vcc
	v_or_b32_e32 v14, v22, v14
	v_cmp_gt_i32_e32 vcc, 1, v15
	v_cndmask_b32_e32 v14, v19, v14, vcc
	v_or_b32_e32 v16, v23, v16
	v_cmp_gt_i32_e32 vcc, 1, v17
	v_and_b32_e32 v18, 7, v14
	v_cndmask_b32_e32 v16, v21, v16, vcc
	v_cmp_lt_i32_e32 vcc, 5, v18
	v_cmp_eq_u32_e64 s[0:1], 3, v18
	v_lshrrev_b32_e32 v14, 2, v14
	v_and_b32_e32 v19, 7, v16
	s_or_b64 vcc, s[0:1], vcc
	v_cmp_lt_i32_e64 s[2:3], 5, v19
	v_cmp_eq_u32_e64 s[4:5], 3, v19
	v_addc_co_u32_e32 v14, vcc, 0, v14, vcc
	v_lshrrev_b32_e32 v16, 2, v16
	s_or_b64 vcc, s[4:5], s[2:3]
	v_addc_co_u32_e32 v16, vcc, 0, v16, vcc
	v_cmp_gt_i32_e32 vcc, 31, v15
	v_cndmask_b32_e32 v14, v1, v14, vcc
	v_cmp_gt_i32_e32 vcc, 31, v17
	v_lshl_or_b32 v12, v12, 9, v1
	v_cndmask_b32_e32 v16, v1, v16, vcc
	v_cmp_eq_u32_e32 vcc, s18, v15
	v_lshrrev_b32_e32 v13, 16, v13
	v_lshl_or_b32 v8, v8, 9, v1
	v_cndmask_b32_e32 v12, v14, v12, vcc
	v_cmp_eq_u32_e32 vcc, s18, v17
	v_lshrrev_b32_e32 v9, 16, v9
	v_cndmask_b32_e32 v8, v16, v8, vcc
	v_and_or_b32 v12, v13, s17, v12
	v_and_or_b32 v8, v9, s17, v8
	v_and_b32_e32 v9, 0xffff, v12
	v_lshl_or_b32 v8, v8, 16, v9
	global_store_dword v[10:11], v8, off
	global_load_dword v12, v45, s[6:7] offset:308
	ds_read2_b32 v[8:9], v45 offset0:77 offset1:154
	s_mul_i32 s0, s9, 0x134
	s_mul_hi_u32 s9, s8, 0x134
	s_mulk_i32 s8, 0x134
	s_add_i32 s9, s9, s0
	s_waitcnt lgkmcnt(0)
	v_lshrrev_b32_e32 v13, 16, v8
	v_add_co_u32_e32 v10, vcc, s8, v10
	s_waitcnt vmcnt(0)
	v_mul_f16_sdwa v14, v13, v12 dst_sel:DWORD dst_unused:UNUSED_PAD src0_sel:DWORD src1_sel:WORD_1
	v_fma_f16 v14, v8, v12, v14
	v_mul_f16_sdwa v8, v8, v12 dst_sel:DWORD dst_unused:UNUSED_PAD src0_sel:DWORD src1_sel:WORD_1
	v_cvt_f32_f16_e32 v14, v14
	v_fma_f16 v8, v12, v13, -v8
	v_cvt_f32_f16_e32 v8, v8
	v_cvt_f64_f32_e32 v[12:13], v14
	v_cvt_f64_f32_e32 v[14:15], v8
	v_mov_b32_e32 v8, s9
	v_mul_f64 v[12:13], v[12:13], s[14:15]
	v_addc_co_u32_e32 v11, vcc, v11, v8, vcc
	v_mul_f64 v[14:15], v[14:15], s[14:15]
	v_and_or_b32 v8, v13, s16, v12
	v_cmp_ne_u32_e32 vcc, 0, v8
	v_lshrrev_b32_e32 v12, 8, v13
	v_and_or_b32 v14, v15, s16, v14
	v_bfe_u32 v16, v13, 20, 11
	v_cndmask_b32_e64 v8, 0, 1, vcc
	v_cmp_ne_u32_e32 vcc, 0, v14
	v_lshrrev_b32_e32 v17, 8, v15
	v_bfe_u32 v18, v15, 20, 11
	v_sub_u32_e32 v19, 0x3f1, v16
	v_cndmask_b32_e64 v14, 0, 1, vcc
	v_and_or_b32 v8, v12, s10, v8
	v_sub_u32_e32 v20, 0x3f1, v18
	v_med3_i32 v12, v19, 0, 13
	v_and_or_b32 v14, v17, s10, v14
	v_or_b32_e32 v19, 0x1000, v8
	v_add_u32_e32 v16, 0xfffffc10, v16
	v_med3_i32 v17, v20, 0, 13
	v_cmp_ne_u32_e32 vcc, 0, v8
	v_or_b32_e32 v21, 0x1000, v14
	v_lshrrev_b32_e32 v23, v12, v19
	v_add_u32_e32 v18, 0xfffffc10, v18
	v_lshl_or_b32 v20, v16, 12, v8
	v_cndmask_b32_e64 v8, 0, 1, vcc
	v_cmp_ne_u32_e32 vcc, 0, v14
	v_lshrrev_b32_e32 v24, v17, v21
	v_lshlrev_b32_e32 v12, v12, v23
	v_lshl_or_b32 v22, v18, 12, v14
	v_cndmask_b32_e64 v14, 0, 1, vcc
	v_lshlrev_b32_e32 v17, v17, v24
	v_cmp_ne_u32_e32 vcc, v12, v19
	v_cndmask_b32_e64 v12, 0, 1, vcc
	v_cmp_ne_u32_e32 vcc, v17, v21
	v_cndmask_b32_e64 v17, 0, 1, vcc
	v_or_b32_e32 v12, v23, v12
	v_cmp_gt_i32_e32 vcc, 1, v16
	v_cndmask_b32_e32 v12, v20, v12, vcc
	v_or_b32_e32 v17, v24, v17
	v_cmp_gt_i32_e32 vcc, 1, v18
	v_and_b32_e32 v19, 7, v12
	v_cndmask_b32_e32 v17, v22, v17, vcc
	v_cmp_lt_i32_e32 vcc, 5, v19
	v_cmp_eq_u32_e64 s[0:1], 3, v19
	v_lshrrev_b32_e32 v12, 2, v12
	v_and_b32_e32 v20, 7, v17
	s_or_b64 vcc, s[0:1], vcc
	v_cmp_lt_i32_e64 s[2:3], 5, v20
	v_cmp_eq_u32_e64 s[4:5], 3, v20
	v_addc_co_u32_e32 v12, vcc, 0, v12, vcc
	v_lshrrev_b32_e32 v17, 2, v17
	s_or_b64 vcc, s[4:5], s[2:3]
	v_addc_co_u32_e32 v17, vcc, 0, v17, vcc
	v_cmp_gt_i32_e32 vcc, 31, v16
	v_cndmask_b32_e32 v12, v1, v12, vcc
	v_cmp_gt_i32_e32 vcc, 31, v18
	v_lshl_or_b32 v8, v8, 9, v1
	v_cndmask_b32_e32 v17, v1, v17, vcc
	v_cmp_eq_u32_e32 vcc, s18, v16
	v_lshrrev_b32_e32 v13, 16, v13
	v_lshl_or_b32 v14, v14, 9, v1
	v_cndmask_b32_e32 v8, v12, v8, vcc
	v_cmp_eq_u32_e32 vcc, s18, v18
	v_lshrrev_b32_e32 v15, 16, v15
	v_cndmask_b32_e32 v12, v17, v14, vcc
	v_and_or_b32 v8, v13, s17, v8
	v_and_or_b32 v12, v15, s17, v12
	v_and_b32_e32 v8, 0xffff, v8
	v_lshl_or_b32 v8, v12, 16, v8
	global_store_dword v[10:11], v8, off
	global_load_dword v8, v45, s[6:7] offset:616
	v_lshrrev_b32_e32 v12, 16, v9
	v_mov_b32_e32 v14, s9
	v_add_co_u32_e32 v10, vcc, s8, v10
	v_addc_co_u32_e32 v11, vcc, v11, v14, vcc
	s_waitcnt vmcnt(0)
	v_mul_f16_sdwa v13, v12, v8 dst_sel:DWORD dst_unused:UNUSED_PAD src0_sel:DWORD src1_sel:WORD_1
	v_fma_f16 v13, v9, v8, v13
	v_mul_f16_sdwa v9, v9, v8 dst_sel:DWORD dst_unused:UNUSED_PAD src0_sel:DWORD src1_sel:WORD_1
	v_cvt_f32_f16_e32 v13, v13
	v_fma_f16 v8, v8, v12, -v9
	v_cvt_f32_f16_e32 v12, v8
	v_cvt_f64_f32_e32 v[8:9], v13
	v_cvt_f64_f32_e32 v[12:13], v12
	v_mul_f64 v[8:9], v[8:9], s[14:15]
	v_mul_f64 v[12:13], v[12:13], s[14:15]
	v_and_or_b32 v8, v9, s16, v8
	v_cmp_ne_u32_e32 vcc, 0, v8
	v_and_or_b32 v12, v13, s16, v12
	v_lshrrev_b32_e32 v14, 8, v9
	v_bfe_u32 v15, v9, 20, 11
	v_cndmask_b32_e64 v8, 0, 1, vcc
	v_cmp_ne_u32_e32 vcc, 0, v12
	v_lshrrev_b32_e32 v16, 8, v13
	v_bfe_u32 v17, v13, 20, 11
	v_sub_u32_e32 v18, 0x3f1, v15
	v_cndmask_b32_e64 v12, 0, 1, vcc
	v_and_or_b32 v8, v14, s10, v8
	v_sub_u32_e32 v19, 0x3f1, v17
	v_med3_i32 v14, v18, 0, 13
	v_and_or_b32 v12, v16, s10, v12
	v_or_b32_e32 v18, 0x1000, v8
	v_add_u32_e32 v15, 0xfffffc10, v15
	v_med3_i32 v16, v19, 0, 13
	v_cmp_ne_u32_e32 vcc, 0, v8
	v_or_b32_e32 v20, 0x1000, v12
	v_lshrrev_b32_e32 v22, v14, v18
	v_add_u32_e32 v17, 0xfffffc10, v17
	v_lshl_or_b32 v19, v15, 12, v8
	v_cndmask_b32_e64 v8, 0, 1, vcc
	v_cmp_ne_u32_e32 vcc, 0, v12
	v_lshrrev_b32_e32 v23, v16, v20
	v_lshlrev_b32_e32 v14, v14, v22
	v_lshl_or_b32 v21, v17, 12, v12
	v_cndmask_b32_e64 v12, 0, 1, vcc
	v_lshlrev_b32_e32 v16, v16, v23
	v_cmp_ne_u32_e32 vcc, v14, v18
	v_cndmask_b32_e64 v14, 0, 1, vcc
	v_cmp_ne_u32_e32 vcc, v16, v20
	v_cndmask_b32_e64 v16, 0, 1, vcc
	v_or_b32_e32 v14, v22, v14
	v_cmp_gt_i32_e32 vcc, 1, v15
	v_cndmask_b32_e32 v14, v19, v14, vcc
	v_or_b32_e32 v16, v23, v16
	v_cmp_gt_i32_e32 vcc, 1, v17
	v_and_b32_e32 v18, 7, v14
	v_cndmask_b32_e32 v16, v21, v16, vcc
	v_cmp_lt_i32_e32 vcc, 5, v18
	v_cmp_eq_u32_e64 s[0:1], 3, v18
	v_lshrrev_b32_e32 v14, 2, v14
	v_and_b32_e32 v19, 7, v16
	s_or_b64 vcc, s[0:1], vcc
	v_cmp_lt_i32_e64 s[2:3], 5, v19
	v_cmp_eq_u32_e64 s[4:5], 3, v19
	v_addc_co_u32_e32 v14, vcc, 0, v14, vcc
	v_lshrrev_b32_e32 v16, 2, v16
	s_or_b64 vcc, s[4:5], s[2:3]
	v_addc_co_u32_e32 v16, vcc, 0, v16, vcc
	v_cmp_gt_i32_e32 vcc, 31, v15
	v_cndmask_b32_e32 v14, v1, v14, vcc
	v_cmp_gt_i32_e32 vcc, 31, v17
	v_lshl_or_b32 v8, v8, 9, v1
	v_cndmask_b32_e32 v16, v1, v16, vcc
	v_cmp_eq_u32_e32 vcc, s18, v15
	v_lshrrev_b32_e32 v9, 16, v9
	v_lshl_or_b32 v12, v12, 9, v1
	v_cndmask_b32_e32 v8, v14, v8, vcc
	v_cmp_eq_u32_e32 vcc, s18, v17
	v_lshrrev_b32_e32 v13, 16, v13
	v_cndmask_b32_e32 v12, v16, v12, vcc
	v_and_or_b32 v8, v9, s17, v8
	v_and_or_b32 v9, v13, s17, v12
	v_and_b32_e32 v8, 0xffff, v8
	v_lshl_or_b32 v8, v9, 16, v8
	global_store_dword v[10:11], v8, off
	global_load_dword v9, v45, s[6:7] offset:924
	ds_read2_b32 v[7:8], v7 offset0:103 offset1:180
	s_waitcnt lgkmcnt(0)
	v_lshrrev_b32_e32 v12, 16, v7
	s_waitcnt vmcnt(0)
	v_mul_f16_sdwa v13, v12, v9 dst_sel:DWORD dst_unused:UNUSED_PAD src0_sel:DWORD src1_sel:WORD_1
	v_fma_f16 v13, v7, v9, v13
	v_mul_f16_sdwa v7, v7, v9 dst_sel:DWORD dst_unused:UNUSED_PAD src0_sel:DWORD src1_sel:WORD_1
	v_cvt_f32_f16_e32 v13, v13
	v_fma_f16 v7, v9, v12, -v7
	v_cvt_f32_f16_e32 v7, v7
	v_add_co_u32_e32 v9, vcc, s8, v10
	v_cvt_f64_f32_e32 v[12:13], v13
	v_cvt_f64_f32_e32 v[14:15], v7
	v_mov_b32_e32 v7, s9
	v_addc_co_u32_e32 v10, vcc, v11, v7, vcc
	v_mul_f64 v[12:13], v[12:13], s[14:15]
	v_mul_f64 v[14:15], v[14:15], s[14:15]
	v_and_or_b32 v7, v13, s16, v12
	v_and_or_b32 v14, v15, s16, v14
	v_cmp_ne_u32_e32 vcc, 0, v7
	v_lshrrev_b32_e32 v11, 8, v13
	v_bfe_u32 v12, v13, 20, 11
	v_cndmask_b32_e64 v7, 0, 1, vcc
	v_cmp_ne_u32_e32 vcc, 0, v14
	v_lshrrev_b32_e32 v16, 8, v15
	v_bfe_u32 v17, v15, 20, 11
	v_sub_u32_e32 v18, 0x3f1, v12
	v_cndmask_b32_e64 v14, 0, 1, vcc
	v_and_or_b32 v7, v11, s10, v7
	v_sub_u32_e32 v19, 0x3f1, v17
	v_med3_i32 v11, v18, 0, 13
	v_and_or_b32 v14, v16, s10, v14
	v_or_b32_e32 v18, 0x1000, v7
	v_add_u32_e32 v12, 0xfffffc10, v12
	v_med3_i32 v16, v19, 0, 13
	v_cmp_ne_u32_e32 vcc, 0, v7
	v_or_b32_e32 v20, 0x1000, v14
	v_lshrrev_b32_e32 v22, v11, v18
	v_add_u32_e32 v17, 0xfffffc10, v17
	v_lshl_or_b32 v19, v12, 12, v7
	v_cndmask_b32_e64 v7, 0, 1, vcc
	v_cmp_ne_u32_e32 vcc, 0, v14
	v_lshrrev_b32_e32 v23, v16, v20
	v_lshlrev_b32_e32 v11, v11, v22
	v_lshl_or_b32 v21, v17, 12, v14
	v_cndmask_b32_e64 v14, 0, 1, vcc
	v_lshlrev_b32_e32 v16, v16, v23
	v_cmp_ne_u32_e32 vcc, v11, v18
	v_cndmask_b32_e64 v11, 0, 1, vcc
	v_cmp_ne_u32_e32 vcc, v16, v20
	v_cndmask_b32_e64 v16, 0, 1, vcc
	v_or_b32_e32 v11, v22, v11
	v_cmp_gt_i32_e32 vcc, 1, v12
	v_cndmask_b32_e32 v11, v19, v11, vcc
	v_or_b32_e32 v16, v23, v16
	v_cmp_gt_i32_e32 vcc, 1, v17
	v_and_b32_e32 v18, 7, v11
	v_cndmask_b32_e32 v16, v21, v16, vcc
	v_cmp_lt_i32_e32 vcc, 5, v18
	v_cmp_eq_u32_e64 s[0:1], 3, v18
	v_lshrrev_b32_e32 v11, 2, v11
	v_and_b32_e32 v19, 7, v16
	s_or_b64 vcc, s[0:1], vcc
	v_cmp_lt_i32_e64 s[2:3], 5, v19
	v_cmp_eq_u32_e64 s[4:5], 3, v19
	v_addc_co_u32_e32 v11, vcc, 0, v11, vcc
	v_lshrrev_b32_e32 v16, 2, v16
	s_or_b64 vcc, s[4:5], s[2:3]
	v_addc_co_u32_e32 v16, vcc, 0, v16, vcc
	v_cmp_gt_i32_e32 vcc, 31, v12
	v_cndmask_b32_e32 v11, v1, v11, vcc
	v_cmp_gt_i32_e32 vcc, 31, v17
	v_lshl_or_b32 v7, v7, 9, v1
	v_cndmask_b32_e32 v16, v1, v16, vcc
	v_cmp_eq_u32_e32 vcc, s18, v12
	v_lshrrev_b32_e32 v13, 16, v13
	v_lshl_or_b32 v14, v14, 9, v1
	v_cndmask_b32_e32 v7, v11, v7, vcc
	v_cmp_eq_u32_e32 vcc, s18, v17
	v_lshrrev_b32_e32 v15, 16, v15
	v_cndmask_b32_e32 v11, v16, v14, vcc
	v_and_or_b32 v7, v13, s17, v7
	v_and_or_b32 v11, v15, s17, v11
	v_and_b32_e32 v7, 0xffff, v7
	v_lshl_or_b32 v7, v11, 16, v7
	global_store_dword v[9:10], v7, off
	global_load_dword v7, v45, s[6:7] offset:1232
	v_lshrrev_b32_e32 v11, 16, v8
	v_mov_b32_e32 v13, s9
	v_add_co_u32_e32 v9, vcc, s8, v9
	v_addc_co_u32_e32 v10, vcc, v10, v13, vcc
	s_waitcnt vmcnt(0)
	v_mul_f16_sdwa v12, v11, v7 dst_sel:DWORD dst_unused:UNUSED_PAD src0_sel:DWORD src1_sel:WORD_1
	v_fma_f16 v12, v8, v7, v12
	v_mul_f16_sdwa v8, v8, v7 dst_sel:DWORD dst_unused:UNUSED_PAD src0_sel:DWORD src1_sel:WORD_1
	v_cvt_f32_f16_e32 v12, v12
	v_fma_f16 v7, v7, v11, -v8
	v_cvt_f32_f16_e32 v11, v7
	v_cvt_f64_f32_e32 v[7:8], v12
	v_cvt_f64_f32_e32 v[11:12], v11
	v_mul_f64 v[7:8], v[7:8], s[14:15]
	v_mul_f64 v[11:12], v[11:12], s[14:15]
	v_and_or_b32 v7, v8, s16, v7
	v_cmp_ne_u32_e32 vcc, 0, v7
	v_and_or_b32 v11, v12, s16, v11
	v_lshrrev_b32_e32 v13, 8, v8
	v_bfe_u32 v14, v8, 20, 11
	v_cndmask_b32_e64 v7, 0, 1, vcc
	v_cmp_ne_u32_e32 vcc, 0, v11
	v_lshrrev_b32_e32 v15, 8, v12
	v_bfe_u32 v16, v12, 20, 11
	v_sub_u32_e32 v17, 0x3f1, v14
	v_cndmask_b32_e64 v11, 0, 1, vcc
	v_and_or_b32 v7, v13, s10, v7
	v_sub_u32_e32 v18, 0x3f1, v16
	v_med3_i32 v13, v17, 0, 13
	v_and_or_b32 v11, v15, s10, v11
	v_or_b32_e32 v17, 0x1000, v7
	v_add_u32_e32 v14, 0xfffffc10, v14
	v_med3_i32 v15, v18, 0, 13
	v_cmp_ne_u32_e32 vcc, 0, v7
	v_or_b32_e32 v19, 0x1000, v11
	v_lshrrev_b32_e32 v21, v13, v17
	v_add_u32_e32 v16, 0xfffffc10, v16
	v_lshl_or_b32 v18, v14, 12, v7
	v_cndmask_b32_e64 v7, 0, 1, vcc
	v_cmp_ne_u32_e32 vcc, 0, v11
	v_lshrrev_b32_e32 v22, v15, v19
	v_lshlrev_b32_e32 v13, v13, v21
	v_lshl_or_b32 v20, v16, 12, v11
	v_cndmask_b32_e64 v11, 0, 1, vcc
	v_lshlrev_b32_e32 v15, v15, v22
	v_cmp_ne_u32_e32 vcc, v13, v17
	v_cndmask_b32_e64 v13, 0, 1, vcc
	v_cmp_ne_u32_e32 vcc, v15, v19
	v_cndmask_b32_e64 v15, 0, 1, vcc
	v_or_b32_e32 v13, v21, v13
	v_cmp_gt_i32_e32 vcc, 1, v14
	v_cndmask_b32_e32 v13, v18, v13, vcc
	v_or_b32_e32 v15, v22, v15
	v_cmp_gt_i32_e32 vcc, 1, v16
	v_and_b32_e32 v17, 7, v13
	v_cndmask_b32_e32 v15, v20, v15, vcc
	v_cmp_lt_i32_e32 vcc, 5, v17
	v_cmp_eq_u32_e64 s[0:1], 3, v17
	v_lshrrev_b32_e32 v13, 2, v13
	v_and_b32_e32 v18, 7, v15
	s_or_b64 vcc, s[0:1], vcc
	v_cmp_lt_i32_e64 s[2:3], 5, v18
	v_cmp_eq_u32_e64 s[4:5], 3, v18
	v_addc_co_u32_e32 v13, vcc, 0, v13, vcc
	v_lshrrev_b32_e32 v15, 2, v15
	s_or_b64 vcc, s[4:5], s[2:3]
	v_addc_co_u32_e32 v15, vcc, 0, v15, vcc
	v_cmp_gt_i32_e32 vcc, 31, v14
	v_cndmask_b32_e32 v13, v1, v13, vcc
	v_cmp_gt_i32_e32 vcc, 31, v16
	v_lshl_or_b32 v7, v7, 9, v1
	v_cndmask_b32_e32 v15, v1, v15, vcc
	v_cmp_eq_u32_e32 vcc, s18, v14
	v_lshrrev_b32_e32 v8, 16, v8
	v_lshl_or_b32 v11, v11, 9, v1
	v_cndmask_b32_e32 v7, v13, v7, vcc
	v_cmp_eq_u32_e32 vcc, s18, v16
	v_lshrrev_b32_e32 v12, 16, v12
	v_cndmask_b32_e32 v11, v15, v11, vcc
	v_and_or_b32 v7, v8, s17, v7
	v_and_or_b32 v8, v12, s17, v11
	v_and_b32_e32 v7, 0xffff, v7
	v_lshl_or_b32 v7, v8, 16, v7
	global_store_dword v[9:10], v7, off
	global_load_dword v8, v45, s[6:7] offset:1540
	ds_read2_b32 v[6:7], v6 offset0:129 offset1:206
	s_waitcnt lgkmcnt(0)
	v_lshrrev_b32_e32 v11, 16, v6
	s_waitcnt vmcnt(0)
	v_mul_f16_sdwa v12, v11, v8 dst_sel:DWORD dst_unused:UNUSED_PAD src0_sel:DWORD src1_sel:WORD_1
	v_fma_f16 v12, v6, v8, v12
	v_mul_f16_sdwa v6, v6, v8 dst_sel:DWORD dst_unused:UNUSED_PAD src0_sel:DWORD src1_sel:WORD_1
	v_cvt_f32_f16_e32 v12, v12
	v_fma_f16 v6, v8, v11, -v6
	v_cvt_f32_f16_e32 v6, v6
	v_add_co_u32_e32 v8, vcc, s8, v9
	v_cvt_f64_f32_e32 v[11:12], v12
	v_cvt_f64_f32_e32 v[13:14], v6
	v_mov_b32_e32 v6, s9
	v_addc_co_u32_e32 v9, vcc, v10, v6, vcc
	v_mul_f64 v[11:12], v[11:12], s[14:15]
	v_mul_f64 v[13:14], v[13:14], s[14:15]
	v_and_or_b32 v6, v12, s16, v11
	v_and_or_b32 v13, v14, s16, v13
	v_cmp_ne_u32_e32 vcc, 0, v6
	v_lshrrev_b32_e32 v10, 8, v12
	v_bfe_u32 v11, v12, 20, 11
	v_cndmask_b32_e64 v6, 0, 1, vcc
	v_cmp_ne_u32_e32 vcc, 0, v13
	v_lshrrev_b32_e32 v15, 8, v14
	v_bfe_u32 v16, v14, 20, 11
	v_sub_u32_e32 v17, 0x3f1, v11
	v_cndmask_b32_e64 v13, 0, 1, vcc
	v_and_or_b32 v6, v10, s10, v6
	v_sub_u32_e32 v18, 0x3f1, v16
	v_med3_i32 v10, v17, 0, 13
	v_and_or_b32 v13, v15, s10, v13
	v_or_b32_e32 v17, 0x1000, v6
	v_add_u32_e32 v11, 0xfffffc10, v11
	v_med3_i32 v15, v18, 0, 13
	v_cmp_ne_u32_e32 vcc, 0, v6
	v_or_b32_e32 v19, 0x1000, v13
	v_lshrrev_b32_e32 v21, v10, v17
	v_add_u32_e32 v16, 0xfffffc10, v16
	v_lshl_or_b32 v18, v11, 12, v6
	v_cndmask_b32_e64 v6, 0, 1, vcc
	v_cmp_ne_u32_e32 vcc, 0, v13
	v_lshrrev_b32_e32 v22, v15, v19
	v_lshlrev_b32_e32 v10, v10, v21
	v_lshl_or_b32 v20, v16, 12, v13
	v_cndmask_b32_e64 v13, 0, 1, vcc
	v_lshlrev_b32_e32 v15, v15, v22
	v_cmp_ne_u32_e32 vcc, v10, v17
	v_cndmask_b32_e64 v10, 0, 1, vcc
	v_cmp_ne_u32_e32 vcc, v15, v19
	v_cndmask_b32_e64 v15, 0, 1, vcc
	v_or_b32_e32 v10, v21, v10
	v_cmp_gt_i32_e32 vcc, 1, v11
	v_cndmask_b32_e32 v10, v18, v10, vcc
	v_or_b32_e32 v15, v22, v15
	v_cmp_gt_i32_e32 vcc, 1, v16
	v_and_b32_e32 v17, 7, v10
	v_cndmask_b32_e32 v15, v20, v15, vcc
	v_cmp_lt_i32_e32 vcc, 5, v17
	v_cmp_eq_u32_e64 s[0:1], 3, v17
	v_lshrrev_b32_e32 v10, 2, v10
	v_and_b32_e32 v18, 7, v15
	s_or_b64 vcc, s[0:1], vcc
	v_cmp_lt_i32_e64 s[2:3], 5, v18
	v_cmp_eq_u32_e64 s[4:5], 3, v18
	v_addc_co_u32_e32 v10, vcc, 0, v10, vcc
	v_lshrrev_b32_e32 v15, 2, v15
	s_or_b64 vcc, s[4:5], s[2:3]
	v_addc_co_u32_e32 v15, vcc, 0, v15, vcc
	v_cmp_gt_i32_e32 vcc, 31, v11
	v_cndmask_b32_e32 v10, v1, v10, vcc
	v_cmp_gt_i32_e32 vcc, 31, v16
	v_lshl_or_b32 v6, v6, 9, v1
	v_cndmask_b32_e32 v15, v1, v15, vcc
	v_cmp_eq_u32_e32 vcc, s18, v11
	v_lshrrev_b32_e32 v12, 16, v12
	v_lshl_or_b32 v13, v13, 9, v1
	v_cndmask_b32_e32 v6, v10, v6, vcc
	v_cmp_eq_u32_e32 vcc, s18, v16
	v_lshrrev_b32_e32 v14, 16, v14
	v_cndmask_b32_e32 v10, v15, v13, vcc
	v_and_or_b32 v6, v12, s17, v6
	v_and_or_b32 v10, v14, s17, v10
	v_and_b32_e32 v6, 0xffff, v6
	v_lshl_or_b32 v6, v10, 16, v6
	global_store_dword v[8:9], v6, off
	global_load_dword v6, v45, s[6:7] offset:1848
	v_lshrrev_b32_e32 v10, 16, v7
	v_mov_b32_e32 v12, s9
	v_add_co_u32_e32 v8, vcc, s8, v8
	v_addc_co_u32_e32 v9, vcc, v9, v12, vcc
	s_waitcnt vmcnt(0)
	v_mul_f16_sdwa v11, v10, v6 dst_sel:DWORD dst_unused:UNUSED_PAD src0_sel:DWORD src1_sel:WORD_1
	v_fma_f16 v11, v7, v6, v11
	v_mul_f16_sdwa v7, v7, v6 dst_sel:DWORD dst_unused:UNUSED_PAD src0_sel:DWORD src1_sel:WORD_1
	v_cvt_f32_f16_e32 v11, v11
	v_fma_f16 v6, v6, v10, -v7
	v_cvt_f32_f16_e32 v10, v6
	v_cvt_f64_f32_e32 v[6:7], v11
	v_cvt_f64_f32_e32 v[10:11], v10
	v_mul_f64 v[6:7], v[6:7], s[14:15]
	v_mul_f64 v[10:11], v[10:11], s[14:15]
	v_and_or_b32 v6, v7, s16, v6
	v_cmp_ne_u32_e32 vcc, 0, v6
	v_and_or_b32 v10, v11, s16, v10
	v_lshrrev_b32_e32 v12, 8, v7
	v_bfe_u32 v13, v7, 20, 11
	v_cndmask_b32_e64 v6, 0, 1, vcc
	v_cmp_ne_u32_e32 vcc, 0, v10
	v_lshrrev_b32_e32 v14, 8, v11
	v_bfe_u32 v15, v11, 20, 11
	v_sub_u32_e32 v16, 0x3f1, v13
	v_cndmask_b32_e64 v10, 0, 1, vcc
	v_and_or_b32 v6, v12, s10, v6
	v_sub_u32_e32 v17, 0x3f1, v15
	v_med3_i32 v12, v16, 0, 13
	v_and_or_b32 v10, v14, s10, v10
	v_or_b32_e32 v16, 0x1000, v6
	v_add_u32_e32 v13, 0xfffffc10, v13
	v_med3_i32 v14, v17, 0, 13
	v_cmp_ne_u32_e32 vcc, 0, v6
	v_or_b32_e32 v18, 0x1000, v10
	v_lshrrev_b32_e32 v20, v12, v16
	v_add_u32_e32 v15, 0xfffffc10, v15
	v_lshl_or_b32 v17, v13, 12, v6
	v_cndmask_b32_e64 v6, 0, 1, vcc
	v_cmp_ne_u32_e32 vcc, 0, v10
	v_lshrrev_b32_e32 v21, v14, v18
	v_lshlrev_b32_e32 v12, v12, v20
	v_lshl_or_b32 v19, v15, 12, v10
	v_cndmask_b32_e64 v10, 0, 1, vcc
	v_lshlrev_b32_e32 v14, v14, v21
	v_cmp_ne_u32_e32 vcc, v12, v16
	v_cndmask_b32_e64 v12, 0, 1, vcc
	v_cmp_ne_u32_e32 vcc, v14, v18
	v_cndmask_b32_e64 v14, 0, 1, vcc
	v_or_b32_e32 v12, v20, v12
	v_cmp_gt_i32_e32 vcc, 1, v13
	v_cndmask_b32_e32 v12, v17, v12, vcc
	v_or_b32_e32 v14, v21, v14
	v_cmp_gt_i32_e32 vcc, 1, v15
	v_and_b32_e32 v16, 7, v12
	v_cndmask_b32_e32 v14, v19, v14, vcc
	v_cmp_lt_i32_e32 vcc, 5, v16
	v_cmp_eq_u32_e64 s[0:1], 3, v16
	v_lshrrev_b32_e32 v12, 2, v12
	v_and_b32_e32 v17, 7, v14
	s_or_b64 vcc, s[0:1], vcc
	v_cmp_lt_i32_e64 s[2:3], 5, v17
	v_cmp_eq_u32_e64 s[4:5], 3, v17
	v_addc_co_u32_e32 v12, vcc, 0, v12, vcc
	v_lshrrev_b32_e32 v14, 2, v14
	s_or_b64 vcc, s[4:5], s[2:3]
	v_addc_co_u32_e32 v14, vcc, 0, v14, vcc
	v_cmp_gt_i32_e32 vcc, 31, v13
	v_cndmask_b32_e32 v12, v1, v12, vcc
	v_cmp_gt_i32_e32 vcc, 31, v15
	v_lshl_or_b32 v6, v6, 9, v1
	v_cndmask_b32_e32 v14, v1, v14, vcc
	v_cmp_eq_u32_e32 vcc, s18, v13
	v_lshrrev_b32_e32 v7, 16, v7
	v_lshl_or_b32 v10, v10, 9, v1
	v_cndmask_b32_e32 v6, v12, v6, vcc
	v_cmp_eq_u32_e32 vcc, s18, v15
	v_lshrrev_b32_e32 v11, 16, v11
	v_cndmask_b32_e32 v10, v14, v10, vcc
	v_and_or_b32 v6, v7, s17, v6
	v_and_or_b32 v7, v11, s17, v10
	v_and_b32_e32 v6, 0xffff, v6
	v_lshl_or_b32 v6, v7, 16, v6
	global_store_dword v[8:9], v6, off
	global_load_dword v10, v45, s[6:7] offset:2156
	ds_read2_b32 v[6:7], v4 offset0:27 offset1:104
	v_add_co_u32_e32 v8, vcc, s8, v8
	s_waitcnt lgkmcnt(0)
	v_lshrrev_b32_e32 v4, 16, v6
	s_waitcnt vmcnt(0)
	v_mul_f16_sdwa v11, v4, v10 dst_sel:DWORD dst_unused:UNUSED_PAD src0_sel:DWORD src1_sel:WORD_1
	v_fma_f16 v11, v6, v10, v11
	v_mul_f16_sdwa v6, v6, v10 dst_sel:DWORD dst_unused:UNUSED_PAD src0_sel:DWORD src1_sel:WORD_1
	v_cvt_f32_f16_e32 v11, v11
	v_fma_f16 v4, v10, v4, -v6
	v_cvt_f32_f16_e32 v4, v4
	v_cvt_f64_f32_e32 v[10:11], v11
	v_cvt_f64_f32_e32 v[12:13], v4
	v_mov_b32_e32 v4, s9
	v_mul_f64 v[10:11], v[10:11], s[14:15]
	v_addc_co_u32_e32 v9, vcc, v9, v4, vcc
	v_mul_f64 v[12:13], v[12:13], s[14:15]
	v_and_or_b32 v4, v11, s16, v10
	v_cmp_ne_u32_e32 vcc, 0, v4
	v_lshrrev_b32_e32 v6, 8, v11
	v_and_or_b32 v12, v13, s16, v12
	v_bfe_u32 v10, v11, 20, 11
	v_cndmask_b32_e64 v4, 0, 1, vcc
	v_cmp_ne_u32_e32 vcc, 0, v12
	v_lshrrev_b32_e32 v14, 8, v13
	v_bfe_u32 v15, v13, 20, 11
	v_sub_u32_e32 v16, 0x3f1, v10
	v_cndmask_b32_e64 v12, 0, 1, vcc
	v_and_or_b32 v4, v6, s10, v4
	v_sub_u32_e32 v17, 0x3f1, v15
	v_med3_i32 v6, v16, 0, 13
	v_and_or_b32 v12, v14, s10, v12
	v_or_b32_e32 v16, 0x1000, v4
	v_add_u32_e32 v10, 0xfffffc10, v10
	v_med3_i32 v14, v17, 0, 13
	v_cmp_ne_u32_e32 vcc, 0, v4
	v_or_b32_e32 v18, 0x1000, v12
	v_lshrrev_b32_e32 v20, v6, v16
	v_add_u32_e32 v15, 0xfffffc10, v15
	v_lshl_or_b32 v17, v10, 12, v4
	v_cndmask_b32_e64 v4, 0, 1, vcc
	v_cmp_ne_u32_e32 vcc, 0, v12
	v_lshrrev_b32_e32 v21, v14, v18
	v_lshlrev_b32_e32 v6, v6, v20
	v_lshl_or_b32 v19, v15, 12, v12
	v_cndmask_b32_e64 v12, 0, 1, vcc
	v_lshlrev_b32_e32 v14, v14, v21
	v_cmp_ne_u32_e32 vcc, v6, v16
	v_cndmask_b32_e64 v6, 0, 1, vcc
	v_cmp_ne_u32_e32 vcc, v14, v18
	v_cndmask_b32_e64 v14, 0, 1, vcc
	v_or_b32_e32 v6, v20, v6
	v_cmp_gt_i32_e32 vcc, 1, v10
	v_cndmask_b32_e32 v6, v17, v6, vcc
	v_or_b32_e32 v14, v21, v14
	v_cmp_gt_i32_e32 vcc, 1, v15
	v_and_b32_e32 v16, 7, v6
	v_cndmask_b32_e32 v14, v19, v14, vcc
	v_cmp_lt_i32_e32 vcc, 5, v16
	v_cmp_eq_u32_e64 s[0:1], 3, v16
	v_lshrrev_b32_e32 v6, 2, v6
	v_and_b32_e32 v17, 7, v14
	s_or_b64 vcc, s[0:1], vcc
	v_cmp_lt_i32_e64 s[2:3], 5, v17
	v_cmp_eq_u32_e64 s[4:5], 3, v17
	v_addc_co_u32_e32 v6, vcc, 0, v6, vcc
	v_lshrrev_b32_e32 v14, 2, v14
	s_or_b64 vcc, s[4:5], s[2:3]
	v_addc_co_u32_e32 v14, vcc, 0, v14, vcc
	v_cmp_gt_i32_e32 vcc, 31, v10
	v_cndmask_b32_e32 v6, v1, v6, vcc
	v_cmp_gt_i32_e32 vcc, 31, v15
	v_lshl_or_b32 v4, v4, 9, v1
	v_cndmask_b32_e32 v14, v1, v14, vcc
	v_cmp_eq_u32_e32 vcc, s18, v10
	v_lshrrev_b32_e32 v11, 16, v11
	v_lshl_or_b32 v12, v12, 9, v1
	v_cndmask_b32_e32 v4, v6, v4, vcc
	v_cmp_eq_u32_e32 vcc, s18, v15
	v_lshrrev_b32_e32 v13, 16, v13
	v_cndmask_b32_e32 v6, v14, v12, vcc
	v_and_or_b32 v4, v11, s17, v4
	v_and_or_b32 v6, v13, s17, v6
	v_and_b32_e32 v4, 0xffff, v4
	v_lshl_or_b32 v4, v6, 16, v4
	global_store_dword v[8:9], v4, off
	global_load_dword v4, v45, s[6:7] offset:2464
	v_lshrrev_b32_e32 v6, 16, v7
	v_add_co_u32_e32 v8, vcc, s8, v8
	s_waitcnt vmcnt(0)
	v_mul_f16_sdwa v10, v6, v4 dst_sel:DWORD dst_unused:UNUSED_PAD src0_sel:DWORD src1_sel:WORD_1
	v_fma_f16 v10, v7, v4, v10
	v_mul_f16_sdwa v7, v7, v4 dst_sel:DWORD dst_unused:UNUSED_PAD src0_sel:DWORD src1_sel:WORD_1
	v_cvt_f32_f16_e32 v10, v10
	v_fma_f16 v4, v4, v6, -v7
	v_cvt_f32_f16_e32 v4, v4
	v_cvt_f64_f32_e32 v[6:7], v10
	v_cvt_f64_f32_e32 v[10:11], v4
	v_mov_b32_e32 v4, s9
	v_mul_f64 v[6:7], v[6:7], s[14:15]
	v_addc_co_u32_e32 v9, vcc, v9, v4, vcc
	v_mul_f64 v[10:11], v[10:11], s[14:15]
	v_and_or_b32 v4, v7, s16, v6
	v_cmp_ne_u32_e32 vcc, 0, v4
	v_lshrrev_b32_e32 v6, 8, v7
	v_and_or_b32 v10, v11, s16, v10
	v_bfe_u32 v12, v7, 20, 11
	v_cndmask_b32_e64 v4, 0, 1, vcc
	v_cmp_ne_u32_e32 vcc, 0, v10
	v_lshrrev_b32_e32 v13, 8, v11
	v_bfe_u32 v14, v11, 20, 11
	v_sub_u32_e32 v15, 0x3f1, v12
	v_cndmask_b32_e64 v10, 0, 1, vcc
	v_and_or_b32 v4, v6, s10, v4
	v_sub_u32_e32 v16, 0x3f1, v14
	v_med3_i32 v6, v15, 0, 13
	v_and_or_b32 v10, v13, s10, v10
	v_or_b32_e32 v15, 0x1000, v4
	v_add_u32_e32 v12, 0xfffffc10, v12
	v_med3_i32 v13, v16, 0, 13
	v_cmp_ne_u32_e32 vcc, 0, v4
	v_or_b32_e32 v17, 0x1000, v10
	v_lshrrev_b32_e32 v19, v6, v15
	v_add_u32_e32 v14, 0xfffffc10, v14
	v_lshl_or_b32 v16, v12, 12, v4
	v_cndmask_b32_e64 v4, 0, 1, vcc
	v_cmp_ne_u32_e32 vcc, 0, v10
	v_lshrrev_b32_e32 v20, v13, v17
	v_lshlrev_b32_e32 v6, v6, v19
	v_lshl_or_b32 v18, v14, 12, v10
	v_cndmask_b32_e64 v10, 0, 1, vcc
	v_lshlrev_b32_e32 v13, v13, v20
	v_cmp_ne_u32_e32 vcc, v6, v15
	v_cndmask_b32_e64 v6, 0, 1, vcc
	v_cmp_ne_u32_e32 vcc, v13, v17
	v_cndmask_b32_e64 v13, 0, 1, vcc
	v_or_b32_e32 v6, v19, v6
	v_cmp_gt_i32_e32 vcc, 1, v12
	v_cndmask_b32_e32 v6, v16, v6, vcc
	v_or_b32_e32 v13, v20, v13
	v_cmp_gt_i32_e32 vcc, 1, v14
	v_and_b32_e32 v15, 7, v6
	v_cndmask_b32_e32 v13, v18, v13, vcc
	v_cmp_lt_i32_e32 vcc, 5, v15
	v_cmp_eq_u32_e64 s[0:1], 3, v15
	v_lshrrev_b32_e32 v6, 2, v6
	v_and_b32_e32 v16, 7, v13
	s_or_b64 vcc, s[0:1], vcc
	v_cmp_lt_i32_e64 s[2:3], 5, v16
	v_cmp_eq_u32_e64 s[4:5], 3, v16
	v_addc_co_u32_e32 v6, vcc, 0, v6, vcc
	v_lshrrev_b32_e32 v13, 2, v13
	s_or_b64 vcc, s[4:5], s[2:3]
	v_addc_co_u32_e32 v13, vcc, 0, v13, vcc
	v_cmp_gt_i32_e32 vcc, 31, v12
	v_cndmask_b32_e32 v6, v1, v6, vcc
	v_cmp_gt_i32_e32 vcc, 31, v14
	v_lshl_or_b32 v4, v4, 9, v1
	v_cndmask_b32_e32 v13, v1, v13, vcc
	v_cmp_eq_u32_e32 vcc, s18, v12
	v_lshrrev_b32_e32 v7, 16, v7
	v_lshl_or_b32 v10, v10, 9, v1
	v_cndmask_b32_e32 v4, v6, v4, vcc
	v_cmp_eq_u32_e32 vcc, s18, v14
	v_lshrrev_b32_e32 v11, 16, v11
	v_cndmask_b32_e32 v6, v13, v10, vcc
	v_and_or_b32 v4, v7, s17, v4
	v_and_or_b32 v6, v11, s17, v6
	v_and_b32_e32 v4, 0xffff, v4
	v_lshl_or_b32 v4, v6, 16, v4
	global_store_dword v[8:9], v4, off
	global_load_dword v6, v45, s[6:7] offset:2772
	ds_read2_b32 v[4:5], v5 offset0:53 offset1:130
	v_add_co_u32_e32 v8, vcc, s8, v8
	s_waitcnt lgkmcnt(0)
	v_lshrrev_b32_e32 v7, 16, v4
	s_waitcnt vmcnt(0)
	v_mul_f16_sdwa v10, v7, v6 dst_sel:DWORD dst_unused:UNUSED_PAD src0_sel:DWORD src1_sel:WORD_1
	v_fma_f16 v10, v4, v6, v10
	v_mul_f16_sdwa v4, v4, v6 dst_sel:DWORD dst_unused:UNUSED_PAD src0_sel:DWORD src1_sel:WORD_1
	v_cvt_f32_f16_e32 v10, v10
	v_fma_f16 v4, v6, v7, -v4
	v_cvt_f32_f16_e32 v4, v4
	v_cvt_f64_f32_e32 v[6:7], v10
	v_cvt_f64_f32_e32 v[10:11], v4
	v_mov_b32_e32 v4, s9
	v_mul_f64 v[6:7], v[6:7], s[14:15]
	v_addc_co_u32_e32 v9, vcc, v9, v4, vcc
	v_mul_f64 v[10:11], v[10:11], s[14:15]
	v_and_or_b32 v4, v7, s16, v6
	v_cmp_ne_u32_e32 vcc, 0, v4
	v_lshrrev_b32_e32 v6, 8, v7
	v_and_or_b32 v10, v11, s16, v10
	v_bfe_u32 v12, v7, 20, 11
	v_cndmask_b32_e64 v4, 0, 1, vcc
	v_cmp_ne_u32_e32 vcc, 0, v10
	v_lshrrev_b32_e32 v13, 8, v11
	v_bfe_u32 v14, v11, 20, 11
	v_sub_u32_e32 v15, 0x3f1, v12
	v_cndmask_b32_e64 v10, 0, 1, vcc
	v_and_or_b32 v4, v6, s10, v4
	v_sub_u32_e32 v16, 0x3f1, v14
	v_med3_i32 v6, v15, 0, 13
	v_and_or_b32 v10, v13, s10, v10
	v_or_b32_e32 v15, 0x1000, v4
	v_add_u32_e32 v12, 0xfffffc10, v12
	v_med3_i32 v13, v16, 0, 13
	v_cmp_ne_u32_e32 vcc, 0, v4
	v_or_b32_e32 v17, 0x1000, v10
	v_lshrrev_b32_e32 v19, v6, v15
	v_add_u32_e32 v14, 0xfffffc10, v14
	v_lshl_or_b32 v16, v12, 12, v4
	v_cndmask_b32_e64 v4, 0, 1, vcc
	v_cmp_ne_u32_e32 vcc, 0, v10
	v_lshrrev_b32_e32 v20, v13, v17
	v_lshlrev_b32_e32 v6, v6, v19
	v_lshl_or_b32 v18, v14, 12, v10
	v_cndmask_b32_e64 v10, 0, 1, vcc
	v_lshlrev_b32_e32 v13, v13, v20
	v_cmp_ne_u32_e32 vcc, v6, v15
	v_cndmask_b32_e64 v6, 0, 1, vcc
	v_cmp_ne_u32_e32 vcc, v13, v17
	v_cndmask_b32_e64 v13, 0, 1, vcc
	v_or_b32_e32 v6, v19, v6
	v_cmp_gt_i32_e32 vcc, 1, v12
	v_cndmask_b32_e32 v6, v16, v6, vcc
	v_or_b32_e32 v13, v20, v13
	v_cmp_gt_i32_e32 vcc, 1, v14
	v_and_b32_e32 v15, 7, v6
	v_cndmask_b32_e32 v13, v18, v13, vcc
	v_cmp_lt_i32_e32 vcc, 5, v15
	v_cmp_eq_u32_e64 s[0:1], 3, v15
	v_lshrrev_b32_e32 v6, 2, v6
	v_and_b32_e32 v16, 7, v13
	s_or_b64 vcc, s[0:1], vcc
	v_cmp_lt_i32_e64 s[2:3], 5, v16
	v_cmp_eq_u32_e64 s[4:5], 3, v16
	v_addc_co_u32_e32 v6, vcc, 0, v6, vcc
	v_lshrrev_b32_e32 v13, 2, v13
	s_or_b64 vcc, s[4:5], s[2:3]
	v_addc_co_u32_e32 v13, vcc, 0, v13, vcc
	v_cmp_gt_i32_e32 vcc, 31, v12
	v_cndmask_b32_e32 v6, v1, v6, vcc
	v_cmp_gt_i32_e32 vcc, 31, v14
	v_lshl_or_b32 v4, v4, 9, v1
	v_cndmask_b32_e32 v13, v1, v13, vcc
	v_cmp_eq_u32_e32 vcc, s18, v12
	v_lshrrev_b32_e32 v7, 16, v7
	v_lshl_or_b32 v10, v10, 9, v1
	v_cndmask_b32_e32 v4, v6, v4, vcc
	v_cmp_eq_u32_e32 vcc, s18, v14
	v_lshrrev_b32_e32 v11, 16, v11
	v_cndmask_b32_e32 v6, v13, v10, vcc
	v_and_or_b32 v4, v7, s17, v4
	v_and_or_b32 v6, v11, s17, v6
	v_and_b32_e32 v4, 0xffff, v4
	v_lshl_or_b32 v4, v6, 16, v4
	global_store_dword v[8:9], v4, off
	global_load_dword v4, v45, s[6:7] offset:3080
	v_lshrrev_b32_e32 v6, 16, v5
	v_mov_b32_e32 v10, s9
	v_add_co_u32_e32 v8, vcc, s8, v8
	v_addc_co_u32_e32 v9, vcc, v9, v10, vcc
	s_waitcnt vmcnt(0)
	v_mul_f16_sdwa v7, v6, v4 dst_sel:DWORD dst_unused:UNUSED_PAD src0_sel:DWORD src1_sel:WORD_1
	v_fma_f16 v7, v5, v4, v7
	v_mul_f16_sdwa v5, v5, v4 dst_sel:DWORD dst_unused:UNUSED_PAD src0_sel:DWORD src1_sel:WORD_1
	v_cvt_f32_f16_e32 v7, v7
	v_fma_f16 v4, v4, v6, -v5
	v_cvt_f32_f16_e32 v6, v4
	v_cvt_f64_f32_e32 v[4:5], v7
	v_cvt_f64_f32_e32 v[6:7], v6
	v_mul_f64 v[4:5], v[4:5], s[14:15]
	v_mul_f64 v[6:7], v[6:7], s[14:15]
	v_and_or_b32 v4, v5, s16, v4
	v_cmp_ne_u32_e32 vcc, 0, v4
	v_and_or_b32 v6, v7, s16, v6
	v_lshrrev_b32_e32 v10, 8, v5
	v_bfe_u32 v11, v5, 20, 11
	v_cndmask_b32_e64 v4, 0, 1, vcc
	v_cmp_ne_u32_e32 vcc, 0, v6
	v_lshrrev_b32_e32 v12, 8, v7
	v_bfe_u32 v13, v7, 20, 11
	v_sub_u32_e32 v14, 0x3f1, v11
	v_cndmask_b32_e64 v6, 0, 1, vcc
	v_and_or_b32 v4, v10, s10, v4
	v_sub_u32_e32 v15, 0x3f1, v13
	v_med3_i32 v10, v14, 0, 13
	v_and_or_b32 v6, v12, s10, v6
	v_or_b32_e32 v14, 0x1000, v4
	v_add_u32_e32 v11, 0xfffffc10, v11
	v_med3_i32 v12, v15, 0, 13
	v_cmp_ne_u32_e32 vcc, 0, v4
	v_or_b32_e32 v16, 0x1000, v6
	v_lshrrev_b32_e32 v18, v10, v14
	v_add_u32_e32 v13, 0xfffffc10, v13
	v_lshl_or_b32 v15, v11, 12, v4
	v_cndmask_b32_e64 v4, 0, 1, vcc
	v_cmp_ne_u32_e32 vcc, 0, v6
	v_lshrrev_b32_e32 v19, v12, v16
	v_lshlrev_b32_e32 v10, v10, v18
	v_lshl_or_b32 v17, v13, 12, v6
	v_cndmask_b32_e64 v6, 0, 1, vcc
	v_lshlrev_b32_e32 v12, v12, v19
	v_cmp_ne_u32_e32 vcc, v10, v14
	v_cndmask_b32_e64 v10, 0, 1, vcc
	v_cmp_ne_u32_e32 vcc, v12, v16
	v_cndmask_b32_e64 v12, 0, 1, vcc
	v_or_b32_e32 v10, v18, v10
	v_cmp_gt_i32_e32 vcc, 1, v11
	v_cndmask_b32_e32 v10, v15, v10, vcc
	v_or_b32_e32 v12, v19, v12
	v_cmp_gt_i32_e32 vcc, 1, v13
	v_and_b32_e32 v14, 7, v10
	v_cndmask_b32_e32 v12, v17, v12, vcc
	v_cmp_lt_i32_e32 vcc, 5, v14
	v_cmp_eq_u32_e64 s[0:1], 3, v14
	v_lshrrev_b32_e32 v10, 2, v10
	v_and_b32_e32 v15, 7, v12
	s_or_b64 vcc, s[0:1], vcc
	v_cmp_lt_i32_e64 s[2:3], 5, v15
	v_cmp_eq_u32_e64 s[4:5], 3, v15
	v_addc_co_u32_e32 v10, vcc, 0, v10, vcc
	v_lshrrev_b32_e32 v12, 2, v12
	s_or_b64 vcc, s[4:5], s[2:3]
	v_addc_co_u32_e32 v12, vcc, 0, v12, vcc
	v_cmp_gt_i32_e32 vcc, 31, v11
	v_cndmask_b32_e32 v10, v1, v10, vcc
	v_cmp_gt_i32_e32 vcc, 31, v13
	v_lshl_or_b32 v4, v4, 9, v1
	v_cndmask_b32_e32 v12, v1, v12, vcc
	v_cmp_eq_u32_e32 vcc, s18, v11
	v_lshrrev_b32_e32 v5, 16, v5
	v_lshl_or_b32 v6, v6, 9, v1
	v_cndmask_b32_e32 v4, v10, v4, vcc
	v_cmp_eq_u32_e32 vcc, s18, v13
	v_lshrrev_b32_e32 v7, 16, v7
	v_cndmask_b32_e32 v6, v12, v6, vcc
	v_and_or_b32 v4, v5, s17, v4
	v_and_or_b32 v5, v7, s17, v6
	v_and_b32_e32 v4, 0xffff, v4
	v_lshl_or_b32 v4, v5, 16, v4
	global_store_dword v[8:9], v4, off
	global_load_dword v6, v45, s[6:7] offset:3388
	ds_read2_b32 v[4:5], v2 offset0:79 offset1:156
	v_add_co_u32_e32 v8, vcc, s8, v8
	s_waitcnt lgkmcnt(0)
	v_lshrrev_b32_e32 v2, 16, v4
	s_waitcnt vmcnt(0)
	v_mul_f16_sdwa v7, v2, v6 dst_sel:DWORD dst_unused:UNUSED_PAD src0_sel:DWORD src1_sel:WORD_1
	v_fma_f16 v7, v4, v6, v7
	v_mul_f16_sdwa v4, v4, v6 dst_sel:DWORD dst_unused:UNUSED_PAD src0_sel:DWORD src1_sel:WORD_1
	v_cvt_f32_f16_e32 v7, v7
	v_fma_f16 v2, v6, v2, -v4
	v_cvt_f32_f16_e32 v2, v2
	v_cvt_f64_f32_e32 v[6:7], v7
	v_cvt_f64_f32_e32 v[10:11], v2
	v_mov_b32_e32 v2, s9
	v_mul_f64 v[6:7], v[6:7], s[14:15]
	v_addc_co_u32_e32 v9, vcc, v9, v2, vcc
	v_mul_f64 v[10:11], v[10:11], s[14:15]
	v_and_or_b32 v2, v7, s16, v6
	v_cmp_ne_u32_e32 vcc, 0, v2
	v_lshrrev_b32_e32 v4, 8, v7
	v_and_or_b32 v10, v11, s16, v10
	v_bfe_u32 v6, v7, 20, 11
	v_cndmask_b32_e64 v2, 0, 1, vcc
	v_cmp_ne_u32_e32 vcc, 0, v10
	v_lshrrev_b32_e32 v12, 8, v11
	v_bfe_u32 v13, v11, 20, 11
	v_sub_u32_e32 v14, 0x3f1, v6
	v_cndmask_b32_e64 v10, 0, 1, vcc
	v_and_or_b32 v2, v4, s10, v2
	v_sub_u32_e32 v15, 0x3f1, v13
	v_med3_i32 v4, v14, 0, 13
	v_and_or_b32 v10, v12, s10, v10
	v_or_b32_e32 v14, 0x1000, v2
	v_add_u32_e32 v6, 0xfffffc10, v6
	v_med3_i32 v12, v15, 0, 13
	v_cmp_ne_u32_e32 vcc, 0, v2
	v_or_b32_e32 v16, 0x1000, v10
	v_lshrrev_b32_e32 v18, v4, v14
	v_add_u32_e32 v13, 0xfffffc10, v13
	v_lshl_or_b32 v15, v6, 12, v2
	v_cndmask_b32_e64 v2, 0, 1, vcc
	v_cmp_ne_u32_e32 vcc, 0, v10
	v_lshrrev_b32_e32 v19, v12, v16
	v_lshlrev_b32_e32 v4, v4, v18
	v_lshl_or_b32 v17, v13, 12, v10
	v_cndmask_b32_e64 v10, 0, 1, vcc
	v_lshlrev_b32_e32 v12, v12, v19
	v_cmp_ne_u32_e32 vcc, v4, v14
	v_cndmask_b32_e64 v4, 0, 1, vcc
	v_cmp_ne_u32_e32 vcc, v12, v16
	v_cndmask_b32_e64 v12, 0, 1, vcc
	v_or_b32_e32 v4, v18, v4
	v_cmp_gt_i32_e32 vcc, 1, v6
	v_cndmask_b32_e32 v4, v15, v4, vcc
	v_or_b32_e32 v12, v19, v12
	v_cmp_gt_i32_e32 vcc, 1, v13
	v_and_b32_e32 v14, 7, v4
	v_cndmask_b32_e32 v12, v17, v12, vcc
	v_cmp_lt_i32_e32 vcc, 5, v14
	v_cmp_eq_u32_e64 s[0:1], 3, v14
	v_lshrrev_b32_e32 v4, 2, v4
	v_and_b32_e32 v15, 7, v12
	s_or_b64 vcc, s[0:1], vcc
	v_cmp_lt_i32_e64 s[2:3], 5, v15
	v_cmp_eq_u32_e64 s[4:5], 3, v15
	v_addc_co_u32_e32 v4, vcc, 0, v4, vcc
	v_lshrrev_b32_e32 v12, 2, v12
	s_or_b64 vcc, s[4:5], s[2:3]
	v_addc_co_u32_e32 v12, vcc, 0, v12, vcc
	v_cmp_gt_i32_e32 vcc, 31, v6
	v_cndmask_b32_e32 v4, v1, v4, vcc
	v_cmp_gt_i32_e32 vcc, 31, v13
	v_lshl_or_b32 v2, v2, 9, v1
	v_cndmask_b32_e32 v12, v1, v12, vcc
	v_cmp_eq_u32_e32 vcc, s18, v6
	v_lshrrev_b32_e32 v7, 16, v7
	v_lshl_or_b32 v10, v10, 9, v1
	v_cndmask_b32_e32 v2, v4, v2, vcc
	v_cmp_eq_u32_e32 vcc, s18, v13
	v_lshrrev_b32_e32 v11, 16, v11
	v_cndmask_b32_e32 v4, v12, v10, vcc
	v_and_or_b32 v2, v7, s17, v2
	v_and_or_b32 v4, v11, s17, v4
	v_and_b32_e32 v2, 0xffff, v2
	v_lshl_or_b32 v2, v4, 16, v2
	global_store_dword v[8:9], v2, off
	global_load_dword v2, v45, s[6:7] offset:3696
	v_lshrrev_b32_e32 v4, 16, v5
	v_add_co_u32_e32 v8, vcc, s8, v8
	s_waitcnt vmcnt(0)
	v_mul_f16_sdwa v6, v4, v2 dst_sel:DWORD dst_unused:UNUSED_PAD src0_sel:DWORD src1_sel:WORD_1
	v_fma_f16 v6, v5, v2, v6
	v_mul_f16_sdwa v5, v5, v2 dst_sel:DWORD dst_unused:UNUSED_PAD src0_sel:DWORD src1_sel:WORD_1
	v_cvt_f32_f16_e32 v6, v6
	v_fma_f16 v2, v2, v4, -v5
	v_cvt_f32_f16_e32 v2, v2
	v_cvt_f64_f32_e32 v[4:5], v6
	v_cvt_f64_f32_e32 v[6:7], v2
	v_mov_b32_e32 v2, s9
	v_mul_f64 v[4:5], v[4:5], s[14:15]
	v_addc_co_u32_e32 v9, vcc, v9, v2, vcc
	v_mul_f64 v[6:7], v[6:7], s[14:15]
	v_and_or_b32 v2, v5, s16, v4
	v_cmp_ne_u32_e32 vcc, 0, v2
	v_lshrrev_b32_e32 v4, 8, v5
	v_and_or_b32 v6, v7, s16, v6
	v_bfe_u32 v10, v5, 20, 11
	v_cndmask_b32_e64 v2, 0, 1, vcc
	v_cmp_ne_u32_e32 vcc, 0, v6
	v_lshrrev_b32_e32 v11, 8, v7
	v_bfe_u32 v12, v7, 20, 11
	v_sub_u32_e32 v13, 0x3f1, v10
	v_cndmask_b32_e64 v6, 0, 1, vcc
	v_and_or_b32 v2, v4, s10, v2
	v_sub_u32_e32 v14, 0x3f1, v12
	v_med3_i32 v4, v13, 0, 13
	v_and_or_b32 v6, v11, s10, v6
	v_or_b32_e32 v13, 0x1000, v2
	v_add_u32_e32 v10, 0xfffffc10, v10
	v_med3_i32 v11, v14, 0, 13
	v_cmp_ne_u32_e32 vcc, 0, v2
	v_or_b32_e32 v15, 0x1000, v6
	v_lshrrev_b32_e32 v17, v4, v13
	v_add_u32_e32 v12, 0xfffffc10, v12
	v_lshl_or_b32 v14, v10, 12, v2
	v_cndmask_b32_e64 v2, 0, 1, vcc
	v_cmp_ne_u32_e32 vcc, 0, v6
	v_lshrrev_b32_e32 v18, v11, v15
	v_lshlrev_b32_e32 v4, v4, v17
	v_lshl_or_b32 v16, v12, 12, v6
	v_cndmask_b32_e64 v6, 0, 1, vcc
	v_lshlrev_b32_e32 v11, v11, v18
	v_cmp_ne_u32_e32 vcc, v4, v13
	v_cndmask_b32_e64 v4, 0, 1, vcc
	v_cmp_ne_u32_e32 vcc, v11, v15
	v_cndmask_b32_e64 v11, 0, 1, vcc
	v_or_b32_e32 v4, v17, v4
	v_cmp_gt_i32_e32 vcc, 1, v10
	v_cndmask_b32_e32 v4, v14, v4, vcc
	v_or_b32_e32 v11, v18, v11
	v_cmp_gt_i32_e32 vcc, 1, v12
	v_and_b32_e32 v13, 7, v4
	v_cndmask_b32_e32 v11, v16, v11, vcc
	v_cmp_lt_i32_e32 vcc, 5, v13
	v_cmp_eq_u32_e64 s[0:1], 3, v13
	v_lshrrev_b32_e32 v4, 2, v4
	v_and_b32_e32 v14, 7, v11
	s_or_b64 vcc, s[0:1], vcc
	v_cmp_lt_i32_e64 s[2:3], 5, v14
	v_cmp_eq_u32_e64 s[4:5], 3, v14
	v_addc_co_u32_e32 v4, vcc, 0, v4, vcc
	v_lshrrev_b32_e32 v11, 2, v11
	s_or_b64 vcc, s[4:5], s[2:3]
	v_addc_co_u32_e32 v11, vcc, 0, v11, vcc
	v_cmp_gt_i32_e32 vcc, 31, v10
	v_cndmask_b32_e32 v4, v1, v4, vcc
	v_cmp_gt_i32_e32 vcc, 31, v12
	v_lshl_or_b32 v2, v2, 9, v1
	v_cndmask_b32_e32 v11, v1, v11, vcc
	v_cmp_eq_u32_e32 vcc, s18, v10
	v_lshrrev_b32_e32 v5, 16, v5
	v_lshl_or_b32 v6, v6, 9, v1
	v_cndmask_b32_e32 v2, v4, v2, vcc
	v_cmp_eq_u32_e32 vcc, s18, v12
	v_lshrrev_b32_e32 v7, 16, v7
	v_cndmask_b32_e32 v4, v11, v6, vcc
	v_and_or_b32 v2, v5, s17, v2
	v_and_or_b32 v4, v7, s17, v4
	v_and_b32_e32 v2, 0xffff, v2
	v_lshl_or_b32 v2, v4, 16, v2
	global_store_dword v[8:9], v2, off
	global_load_dword v4, v45, s[6:7] offset:4004
	ds_read2_b32 v[2:3], v3 offset0:105 offset1:182
	v_mov_b32_e32 v6, s7
	v_add_co_u32_e32 v10, vcc, s6, v45
	v_addc_co_u32_e32 v11, vcc, 0, v6, vcc
	s_waitcnt lgkmcnt(0)
	v_lshrrev_b32_e32 v5, 16, v2
	v_add_co_u32_e32 v10, vcc, s19, v10
	v_addc_co_u32_e32 v11, vcc, 0, v11, vcc
	v_mov_b32_e32 v12, s9
	v_add_co_u32_e32 v8, vcc, s8, v8
	v_addc_co_u32_e32 v9, vcc, v9, v12, vcc
	s_waitcnt vmcnt(0)
	v_mul_f16_sdwa v7, v5, v4 dst_sel:DWORD dst_unused:UNUSED_PAD src0_sel:DWORD src1_sel:WORD_1
	v_fma_f16 v7, v2, v4, v7
	v_mul_f16_sdwa v2, v2, v4 dst_sel:DWORD dst_unused:UNUSED_PAD src0_sel:DWORD src1_sel:WORD_1
	v_cvt_f32_f16_e32 v7, v7
	v_fma_f16 v2, v4, v5, -v2
	v_cvt_f32_f16_e32 v2, v2
	v_cvt_f64_f32_e32 v[4:5], v7
	v_cvt_f64_f32_e32 v[6:7], v2
	v_mul_f64 v[4:5], v[4:5], s[14:15]
	v_mul_f64 v[6:7], v[6:7], s[14:15]
	v_and_or_b32 v2, v5, s16, v4
	v_cmp_ne_u32_e32 vcc, 0, v2
	v_and_or_b32 v6, v7, s16, v6
	v_lshrrev_b32_e32 v4, 8, v5
	v_bfe_u32 v12, v5, 20, 11
	v_cndmask_b32_e64 v2, 0, 1, vcc
	v_cmp_ne_u32_e32 vcc, 0, v6
	v_lshrrev_b32_e32 v13, 8, v7
	v_bfe_u32 v14, v7, 20, 11
	v_sub_u32_e32 v15, 0x3f1, v12
	v_cndmask_b32_e64 v6, 0, 1, vcc
	v_and_or_b32 v2, v4, s10, v2
	v_sub_u32_e32 v16, 0x3f1, v14
	v_med3_i32 v4, v15, 0, 13
	v_and_or_b32 v6, v13, s10, v6
	v_or_b32_e32 v15, 0x1000, v2
	v_add_u32_e32 v12, 0xfffffc10, v12
	v_med3_i32 v13, v16, 0, 13
	v_cmp_ne_u32_e32 vcc, 0, v2
	v_or_b32_e32 v17, 0x1000, v6
	v_lshrrev_b32_e32 v19, v4, v15
	v_add_u32_e32 v14, 0xfffffc10, v14
	v_lshl_or_b32 v16, v12, 12, v2
	v_cndmask_b32_e64 v2, 0, 1, vcc
	v_cmp_ne_u32_e32 vcc, 0, v6
	v_lshrrev_b32_e32 v20, v13, v17
	v_lshlrev_b32_e32 v4, v4, v19
	v_lshl_or_b32 v18, v14, 12, v6
	v_cndmask_b32_e64 v6, 0, 1, vcc
	v_lshlrev_b32_e32 v13, v13, v20
	v_cmp_ne_u32_e32 vcc, v4, v15
	v_cndmask_b32_e64 v4, 0, 1, vcc
	v_cmp_ne_u32_e32 vcc, v13, v17
	v_cndmask_b32_e64 v13, 0, 1, vcc
	v_or_b32_e32 v4, v19, v4
	v_cmp_gt_i32_e32 vcc, 1, v12
	v_cndmask_b32_e32 v4, v16, v4, vcc
	v_or_b32_e32 v13, v20, v13
	v_cmp_gt_i32_e32 vcc, 1, v14
	v_and_b32_e32 v15, 7, v4
	v_cndmask_b32_e32 v13, v18, v13, vcc
	v_cmp_lt_i32_e32 vcc, 5, v15
	v_cmp_eq_u32_e64 s[0:1], 3, v15
	v_lshrrev_b32_e32 v4, 2, v4
	v_and_b32_e32 v16, 7, v13
	s_or_b64 vcc, s[0:1], vcc
	v_cmp_lt_i32_e64 s[2:3], 5, v16
	v_cmp_eq_u32_e64 s[4:5], 3, v16
	v_addc_co_u32_e32 v4, vcc, 0, v4, vcc
	v_lshrrev_b32_e32 v13, 2, v13
	s_or_b64 vcc, s[4:5], s[2:3]
	v_addc_co_u32_e32 v13, vcc, 0, v13, vcc
	v_cmp_gt_i32_e32 vcc, 31, v12
	v_cndmask_b32_e32 v4, v1, v4, vcc
	v_cmp_gt_i32_e32 vcc, 31, v14
	v_lshl_or_b32 v2, v2, 9, v1
	v_cndmask_b32_e32 v13, v1, v13, vcc
	v_cmp_eq_u32_e32 vcc, s18, v12
	v_lshrrev_b32_e32 v5, 16, v5
	v_lshl_or_b32 v6, v6, 9, v1
	v_cndmask_b32_e32 v2, v4, v2, vcc
	v_cmp_eq_u32_e32 vcc, s18, v14
	v_lshrrev_b32_e32 v7, 16, v7
	v_cndmask_b32_e32 v4, v13, v6, vcc
	v_and_or_b32 v2, v5, s17, v2
	v_and_or_b32 v4, v7, s17, v4
	v_and_b32_e32 v2, 0xffff, v2
	v_lshl_or_b32 v2, v4, 16, v2
	global_store_dword v[8:9], v2, off
	global_load_dword v2, v[10:11], off offset:216
	v_lshrrev_b32_e32 v4, 16, v3
	v_mov_b32_e32 v7, s9
	v_add_co_u32_e32 v6, vcc, s8, v8
	v_addc_co_u32_e32 v7, vcc, v9, v7, vcc
	s_waitcnt vmcnt(0)
	v_mul_f16_sdwa v5, v4, v2 dst_sel:DWORD dst_unused:UNUSED_PAD src0_sel:DWORD src1_sel:WORD_1
	v_fma_f16 v5, v3, v2, v5
	v_mul_f16_sdwa v3, v3, v2 dst_sel:DWORD dst_unused:UNUSED_PAD src0_sel:DWORD src1_sel:WORD_1
	v_cvt_f32_f16_e32 v5, v5
	v_fma_f16 v2, v2, v4, -v3
	v_cvt_f32_f16_e32 v4, v2
	v_cvt_f64_f32_e32 v[2:3], v5
	v_cvt_f64_f32_e32 v[4:5], v4
	v_mul_f64 v[2:3], v[2:3], s[14:15]
	v_mul_f64 v[4:5], v[4:5], s[14:15]
	v_and_or_b32 v2, v3, s16, v2
	v_cmp_ne_u32_e32 vcc, 0, v2
	v_and_or_b32 v4, v5, s16, v4
	v_lshrrev_b32_e32 v8, 8, v3
	v_bfe_u32 v9, v3, 20, 11
	v_cndmask_b32_e64 v2, 0, 1, vcc
	v_cmp_ne_u32_e32 vcc, 0, v4
	v_lshrrev_b32_e32 v12, 8, v5
	v_bfe_u32 v13, v5, 20, 11
	v_sub_u32_e32 v14, 0x3f1, v9
	v_cndmask_b32_e64 v4, 0, 1, vcc
	v_and_or_b32 v2, v8, s10, v2
	v_sub_u32_e32 v15, 0x3f1, v13
	v_med3_i32 v8, v14, 0, 13
	v_and_or_b32 v4, v12, s10, v4
	v_or_b32_e32 v14, 0x1000, v2
	v_add_u32_e32 v9, 0xfffffc10, v9
	v_med3_i32 v12, v15, 0, 13
	v_cmp_ne_u32_e32 vcc, 0, v2
	v_or_b32_e32 v16, 0x1000, v4
	v_lshrrev_b32_e32 v18, v8, v14
	v_add_u32_e32 v13, 0xfffffc10, v13
	v_lshl_or_b32 v15, v9, 12, v2
	v_cndmask_b32_e64 v2, 0, 1, vcc
	v_cmp_ne_u32_e32 vcc, 0, v4
	v_lshrrev_b32_e32 v19, v12, v16
	v_lshlrev_b32_e32 v8, v8, v18
	v_lshl_or_b32 v17, v13, 12, v4
	v_cndmask_b32_e64 v4, 0, 1, vcc
	v_lshlrev_b32_e32 v12, v12, v19
	v_cmp_ne_u32_e32 vcc, v8, v14
	v_cndmask_b32_e64 v8, 0, 1, vcc
	v_cmp_ne_u32_e32 vcc, v12, v16
	v_cndmask_b32_e64 v12, 0, 1, vcc
	v_or_b32_e32 v8, v18, v8
	v_cmp_gt_i32_e32 vcc, 1, v9
	v_cndmask_b32_e32 v8, v15, v8, vcc
	v_or_b32_e32 v12, v19, v12
	v_cmp_gt_i32_e32 vcc, 1, v13
	v_and_b32_e32 v14, 7, v8
	v_cndmask_b32_e32 v12, v17, v12, vcc
	v_cmp_lt_i32_e32 vcc, 5, v14
	v_cmp_eq_u32_e64 s[0:1], 3, v14
	v_lshrrev_b32_e32 v8, 2, v8
	v_and_b32_e32 v15, 7, v12
	s_or_b64 vcc, s[0:1], vcc
	v_cmp_lt_i32_e64 s[2:3], 5, v15
	v_cmp_eq_u32_e64 s[4:5], 3, v15
	v_addc_co_u32_e32 v8, vcc, 0, v8, vcc
	v_lshrrev_b32_e32 v12, 2, v12
	s_or_b64 vcc, s[4:5], s[2:3]
	v_addc_co_u32_e32 v12, vcc, 0, v12, vcc
	v_cmp_gt_i32_e32 vcc, 31, v9
	v_cndmask_b32_e32 v8, v1, v8, vcc
	v_cmp_gt_i32_e32 vcc, 31, v13
	v_lshl_or_b32 v2, v2, 9, v1
	v_cndmask_b32_e32 v12, v1, v12, vcc
	v_cmp_eq_u32_e32 vcc, s18, v9
	v_lshrrev_b32_e32 v3, 16, v3
	v_lshl_or_b32 v4, v4, 9, v1
	v_cndmask_b32_e32 v2, v8, v2, vcc
	v_cmp_eq_u32_e32 vcc, s18, v13
	v_lshrrev_b32_e32 v5, 16, v5
	v_cndmask_b32_e32 v4, v12, v4, vcc
	v_and_or_b32 v2, v3, s17, v2
	v_and_or_b32 v3, v5, s17, v4
	v_and_b32_e32 v2, 0xffff, v2
	v_lshl_or_b32 v2, v3, 16, v2
	global_store_dword v[6:7], v2, off
	global_load_dword v4, v[10:11], off offset:524
	ds_read2_b32 v[2:3], v0 offset0:131 offset1:208
	v_add_co_u32_e32 v6, vcc, s8, v6
	s_waitcnt lgkmcnt(0)
	v_lshrrev_b32_e32 v0, 16, v2
	s_waitcnt vmcnt(0)
	v_mul_f16_sdwa v5, v0, v4 dst_sel:DWORD dst_unused:UNUSED_PAD src0_sel:DWORD src1_sel:WORD_1
	v_fma_f16 v5, v2, v4, v5
	v_mul_f16_sdwa v2, v2, v4 dst_sel:DWORD dst_unused:UNUSED_PAD src0_sel:DWORD src1_sel:WORD_1
	v_cvt_f32_f16_e32 v5, v5
	v_fma_f16 v0, v4, v0, -v2
	v_cvt_f32_f16_e32 v0, v0
	v_cvt_f64_f32_e32 v[4:5], v5
	v_cvt_f64_f32_e32 v[8:9], v0
	v_mov_b32_e32 v0, s9
	v_mul_f64 v[4:5], v[4:5], s[14:15]
	v_addc_co_u32_e32 v7, vcc, v7, v0, vcc
	v_mul_f64 v[8:9], v[8:9], s[14:15]
	v_and_or_b32 v0, v5, s16, v4
	v_cmp_ne_u32_e32 vcc, 0, v0
	v_lshrrev_b32_e32 v2, 8, v5
	v_and_or_b32 v8, v9, s16, v8
	v_bfe_u32 v4, v5, 20, 11
	v_cndmask_b32_e64 v0, 0, 1, vcc
	v_cmp_ne_u32_e32 vcc, 0, v8
	v_lshrrev_b32_e32 v12, 8, v9
	v_bfe_u32 v13, v9, 20, 11
	v_sub_u32_e32 v14, 0x3f1, v4
	v_cndmask_b32_e64 v8, 0, 1, vcc
	v_and_or_b32 v0, v2, s10, v0
	v_sub_u32_e32 v15, 0x3f1, v13
	v_med3_i32 v2, v14, 0, 13
	v_and_or_b32 v8, v12, s10, v8
	v_or_b32_e32 v14, 0x1000, v0
	v_add_u32_e32 v4, 0xfffffc10, v4
	v_med3_i32 v12, v15, 0, 13
	v_cmp_ne_u32_e32 vcc, 0, v0
	v_or_b32_e32 v16, 0x1000, v8
	v_lshrrev_b32_e32 v18, v2, v14
	v_add_u32_e32 v13, 0xfffffc10, v13
	v_lshl_or_b32 v15, v4, 12, v0
	v_cndmask_b32_e64 v0, 0, 1, vcc
	v_cmp_ne_u32_e32 vcc, 0, v8
	v_lshrrev_b32_e32 v19, v12, v16
	v_lshlrev_b32_e32 v2, v2, v18
	v_lshl_or_b32 v17, v13, 12, v8
	v_cndmask_b32_e64 v8, 0, 1, vcc
	v_lshlrev_b32_e32 v12, v12, v19
	v_cmp_ne_u32_e32 vcc, v2, v14
	v_cndmask_b32_e64 v2, 0, 1, vcc
	v_cmp_ne_u32_e32 vcc, v12, v16
	v_cndmask_b32_e64 v12, 0, 1, vcc
	v_or_b32_e32 v2, v18, v2
	v_cmp_gt_i32_e32 vcc, 1, v4
	v_cndmask_b32_e32 v2, v15, v2, vcc
	v_or_b32_e32 v12, v19, v12
	v_cmp_gt_i32_e32 vcc, 1, v13
	v_and_b32_e32 v14, 7, v2
	v_cndmask_b32_e32 v12, v17, v12, vcc
	v_cmp_lt_i32_e32 vcc, 5, v14
	v_cmp_eq_u32_e64 s[0:1], 3, v14
	v_lshrrev_b32_e32 v2, 2, v2
	v_and_b32_e32 v15, 7, v12
	s_or_b64 vcc, s[0:1], vcc
	v_cmp_lt_i32_e64 s[2:3], 5, v15
	v_cmp_eq_u32_e64 s[4:5], 3, v15
	v_addc_co_u32_e32 v2, vcc, 0, v2, vcc
	v_lshrrev_b32_e32 v12, 2, v12
	s_or_b64 vcc, s[4:5], s[2:3]
	v_addc_co_u32_e32 v12, vcc, 0, v12, vcc
	v_cmp_gt_i32_e32 vcc, 31, v4
	v_cndmask_b32_e32 v2, v1, v2, vcc
	v_cmp_gt_i32_e32 vcc, 31, v13
	v_lshl_or_b32 v0, v0, 9, v1
	v_cndmask_b32_e32 v12, v1, v12, vcc
	v_cmp_eq_u32_e32 vcc, s18, v4
	v_lshrrev_b32_e32 v5, 16, v5
	v_lshl_or_b32 v8, v8, 9, v1
	v_cndmask_b32_e32 v0, v2, v0, vcc
	v_cmp_eq_u32_e32 vcc, s18, v13
	v_lshrrev_b32_e32 v9, 16, v9
	v_cndmask_b32_e32 v2, v12, v8, vcc
	v_and_or_b32 v0, v5, s17, v0
	v_and_or_b32 v2, v9, s17, v2
	v_and_b32_e32 v0, 0xffff, v0
	v_lshl_or_b32 v0, v2, 16, v0
	global_store_dword v[6:7], v0, off
	global_load_dword v0, v[10:11], off offset:832
	v_lshrrev_b32_e32 v2, 16, v3
	v_mov_b32_e32 v8, s9
	s_waitcnt vmcnt(0)
	v_mul_f16_sdwa v4, v2, v0 dst_sel:DWORD dst_unused:UNUSED_PAD src0_sel:DWORD src1_sel:WORD_1
	v_fma_f16 v4, v3, v0, v4
	v_mul_f16_sdwa v3, v3, v0 dst_sel:DWORD dst_unused:UNUSED_PAD src0_sel:DWORD src1_sel:WORD_1
	v_cvt_f32_f16_e32 v4, v4
	v_fma_f16 v0, v0, v2, -v3
	v_cvt_f32_f16_e32 v0, v0
	v_cvt_f64_f32_e32 v[2:3], v4
	v_cvt_f64_f32_e32 v[4:5], v0
	v_mul_f64 v[2:3], v[2:3], s[14:15]
	v_mul_f64 v[4:5], v[4:5], s[14:15]
	v_and_or_b32 v0, v3, s16, v2
	v_cmp_ne_u32_e32 vcc, 0, v0
	v_and_or_b32 v4, v5, s16, v4
	v_lshrrev_b32_e32 v2, 8, v3
	v_bfe_u32 v9, v3, 20, 11
	v_cndmask_b32_e64 v0, 0, 1, vcc
	v_cmp_ne_u32_e32 vcc, 0, v4
	v_lshrrev_b32_e32 v10, 8, v5
	v_bfe_u32 v11, v5, 20, 11
	v_sub_u32_e32 v12, 0x3f1, v9
	v_cndmask_b32_e64 v4, 0, 1, vcc
	v_and_or_b32 v0, v2, s10, v0
	v_sub_u32_e32 v13, 0x3f1, v11
	v_med3_i32 v2, v12, 0, 13
	v_and_or_b32 v4, v10, s10, v4
	v_or_b32_e32 v12, 0x1000, v0
	v_add_u32_e32 v9, 0xfffffc10, v9
	v_med3_i32 v10, v13, 0, 13
	v_cmp_ne_u32_e32 vcc, 0, v0
	v_or_b32_e32 v14, 0x1000, v4
	v_lshrrev_b32_e32 v16, v2, v12
	v_add_u32_e32 v11, 0xfffffc10, v11
	v_lshl_or_b32 v13, v9, 12, v0
	v_cndmask_b32_e64 v0, 0, 1, vcc
	v_cmp_ne_u32_e32 vcc, 0, v4
	v_lshrrev_b32_e32 v17, v10, v14
	v_lshlrev_b32_e32 v2, v2, v16
	v_lshl_or_b32 v15, v11, 12, v4
	v_cndmask_b32_e64 v4, 0, 1, vcc
	v_lshlrev_b32_e32 v10, v10, v17
	v_cmp_ne_u32_e32 vcc, v2, v12
	v_cndmask_b32_e64 v2, 0, 1, vcc
	v_cmp_ne_u32_e32 vcc, v10, v14
	v_cndmask_b32_e64 v10, 0, 1, vcc
	v_or_b32_e32 v2, v16, v2
	v_cmp_gt_i32_e32 vcc, 1, v9
	v_cndmask_b32_e32 v2, v13, v2, vcc
	v_or_b32_e32 v10, v17, v10
	v_cmp_gt_i32_e32 vcc, 1, v11
	v_and_b32_e32 v12, 7, v2
	v_cndmask_b32_e32 v10, v15, v10, vcc
	v_cmp_lt_i32_e32 vcc, 5, v12
	v_cmp_eq_u32_e64 s[0:1], 3, v12
	v_lshrrev_b32_e32 v2, 2, v2
	v_and_b32_e32 v13, 7, v10
	s_or_b64 vcc, s[0:1], vcc
	v_cmp_lt_i32_e64 s[2:3], 5, v13
	v_cmp_eq_u32_e64 s[4:5], 3, v13
	v_addc_co_u32_e32 v2, vcc, 0, v2, vcc
	v_lshrrev_b32_e32 v10, 2, v10
	s_or_b64 vcc, s[4:5], s[2:3]
	v_addc_co_u32_e32 v10, vcc, 0, v10, vcc
	v_cmp_gt_i32_e32 vcc, 31, v9
	v_cndmask_b32_e32 v2, v1, v2, vcc
	v_cmp_gt_i32_e32 vcc, 31, v11
	v_lshl_or_b32 v0, v0, 9, v1
	v_lshl_or_b32 v4, v4, 9, v1
	v_cndmask_b32_e32 v1, v1, v10, vcc
	v_cmp_eq_u32_e32 vcc, s18, v9
	v_lshrrev_b32_e32 v3, 16, v3
	v_cndmask_b32_e32 v0, v2, v0, vcc
	v_cmp_eq_u32_e32 vcc, s18, v11
	v_lshrrev_b32_e32 v5, 16, v5
	v_cndmask_b32_e32 v1, v1, v4, vcc
	v_and_or_b32 v0, v3, s17, v0
	v_and_or_b32 v1, v5, s17, v1
	v_and_b32_e32 v0, 0xffff, v0
	v_lshl_or_b32 v2, v1, 16, v0
	v_add_co_u32_e32 v0, vcc, s8, v6
	v_addc_co_u32_e32 v1, vcc, v7, v8, vcc
	global_store_dword v[0:1], v2, off
.LBB0_23:
	s_endpgm
	.section	.rodata,"a",@progbits
	.p2align	6, 0x0
	.amdhsa_kernel bluestein_single_fwd_len1309_dim1_half_op_CI_CI
		.amdhsa_group_segment_fixed_size 5236
		.amdhsa_private_segment_fixed_size 0
		.amdhsa_kernarg_size 104
		.amdhsa_user_sgpr_count 6
		.amdhsa_user_sgpr_private_segment_buffer 1
		.amdhsa_user_sgpr_dispatch_ptr 0
		.amdhsa_user_sgpr_queue_ptr 0
		.amdhsa_user_sgpr_kernarg_segment_ptr 1
		.amdhsa_user_sgpr_dispatch_id 0
		.amdhsa_user_sgpr_flat_scratch_init 0
		.amdhsa_user_sgpr_private_segment_size 0
		.amdhsa_uses_dynamic_stack 0
		.amdhsa_system_sgpr_private_segment_wavefront_offset 0
		.amdhsa_system_sgpr_workgroup_id_x 1
		.amdhsa_system_sgpr_workgroup_id_y 0
		.amdhsa_system_sgpr_workgroup_id_z 0
		.amdhsa_system_sgpr_workgroup_info 0
		.amdhsa_system_vgpr_workitem_id 0
		.amdhsa_next_free_vgpr 249
		.amdhsa_next_free_sgpr 39
		.amdhsa_reserve_vcc 1
		.amdhsa_reserve_flat_scratch 0
		.amdhsa_float_round_mode_32 0
		.amdhsa_float_round_mode_16_64 0
		.amdhsa_float_denorm_mode_32 3
		.amdhsa_float_denorm_mode_16_64 3
		.amdhsa_dx10_clamp 1
		.amdhsa_ieee_mode 1
		.amdhsa_fp16_overflow 0
		.amdhsa_exception_fp_ieee_invalid_op 0
		.amdhsa_exception_fp_denorm_src 0
		.amdhsa_exception_fp_ieee_div_zero 0
		.amdhsa_exception_fp_ieee_overflow 0
		.amdhsa_exception_fp_ieee_underflow 0
		.amdhsa_exception_fp_ieee_inexact 0
		.amdhsa_exception_int_div_zero 0
	.end_amdhsa_kernel
	.text
.Lfunc_end0:
	.size	bluestein_single_fwd_len1309_dim1_half_op_CI_CI, .Lfunc_end0-bluestein_single_fwd_len1309_dim1_half_op_CI_CI
                                        ; -- End function
	.section	.AMDGPU.csdata,"",@progbits
; Kernel info:
; codeLenInByte = 30784
; NumSgprs: 43
; NumVgprs: 249
; ScratchSize: 0
; MemoryBound: 0
; FloatMode: 240
; IeeeMode: 1
; LDSByteSize: 5236 bytes/workgroup (compile time only)
; SGPRBlocks: 5
; VGPRBlocks: 62
; NumSGPRsForWavesPerEU: 43
; NumVGPRsForWavesPerEU: 249
; Occupancy: 1
; WaveLimiterHint : 1
; COMPUTE_PGM_RSRC2:SCRATCH_EN: 0
; COMPUTE_PGM_RSRC2:USER_SGPR: 6
; COMPUTE_PGM_RSRC2:TRAP_HANDLER: 0
; COMPUTE_PGM_RSRC2:TGID_X_EN: 1
; COMPUTE_PGM_RSRC2:TGID_Y_EN: 0
; COMPUTE_PGM_RSRC2:TGID_Z_EN: 0
; COMPUTE_PGM_RSRC2:TIDIG_COMP_CNT: 0
	.type	__hip_cuid_88955cff02c5b2ca,@object ; @__hip_cuid_88955cff02c5b2ca
	.section	.bss,"aw",@nobits
	.globl	__hip_cuid_88955cff02c5b2ca
__hip_cuid_88955cff02c5b2ca:
	.byte	0                               ; 0x0
	.size	__hip_cuid_88955cff02c5b2ca, 1

	.ident	"AMD clang version 19.0.0git (https://github.com/RadeonOpenCompute/llvm-project roc-6.4.0 25133 c7fe45cf4b819c5991fe208aaa96edf142730f1d)"
	.section	".note.GNU-stack","",@progbits
	.addrsig
	.addrsig_sym __hip_cuid_88955cff02c5b2ca
	.amdgpu_metadata
---
amdhsa.kernels:
  - .args:
      - .actual_access:  read_only
        .address_space:  global
        .offset:         0
        .size:           8
        .value_kind:     global_buffer
      - .actual_access:  read_only
        .address_space:  global
        .offset:         8
        .size:           8
        .value_kind:     global_buffer
      - .actual_access:  read_only
        .address_space:  global
        .offset:         16
        .size:           8
        .value_kind:     global_buffer
      - .actual_access:  read_only
        .address_space:  global
        .offset:         24
        .size:           8
        .value_kind:     global_buffer
      - .actual_access:  read_only
        .address_space:  global
        .offset:         32
        .size:           8
        .value_kind:     global_buffer
      - .offset:         40
        .size:           8
        .value_kind:     by_value
      - .address_space:  global
        .offset:         48
        .size:           8
        .value_kind:     global_buffer
      - .address_space:  global
        .offset:         56
        .size:           8
        .value_kind:     global_buffer
      - .address_space:  global
        .offset:         64
        .size:           8
        .value_kind:     global_buffer
      - .address_space:  global
        .offset:         72
        .size:           8
        .value_kind:     global_buffer
      - .offset:         80
        .size:           4
        .value_kind:     by_value
      - .address_space:  global
        .offset:         88
        .size:           8
        .value_kind:     global_buffer
      - .address_space:  global
        .offset:         96
        .size:           8
        .value_kind:     global_buffer
    .group_segment_fixed_size: 5236
    .kernarg_segment_align: 8
    .kernarg_segment_size: 104
    .language:       OpenCL C
    .language_version:
      - 2
      - 0
    .max_flat_workgroup_size: 119
    .name:           bluestein_single_fwd_len1309_dim1_half_op_CI_CI
    .private_segment_fixed_size: 0
    .sgpr_count:     43
    .sgpr_spill_count: 0
    .symbol:         bluestein_single_fwd_len1309_dim1_half_op_CI_CI.kd
    .uniform_work_group_size: 1
    .uses_dynamic_stack: false
    .vgpr_count:     249
    .vgpr_spill_count: 0
    .wavefront_size: 64
amdhsa.target:   amdgcn-amd-amdhsa--gfx906
amdhsa.version:
  - 1
  - 2
...

	.end_amdgpu_metadata
